;; amdgpu-corpus repo=zjin-lcf/HeCBench kind=compiled arch=gfx1250 opt=O3
	.amdgcn_target "amdgcn-amd-amdhsa--gfx1250"
	.amdhsa_code_object_version 6
	.text
	.protected	_Z7entropyPfPKcii       ; -- Begin function _Z7entropyPfPKcii
	.globl	_Z7entropyPfPKcii
	.p2align	8
	.type	_Z7entropyPfPKcii,@function
_Z7entropyPfPKcii:                      ; @_Z7entropyPfPKcii
; %bb.0:
	s_clause 0x1
	s_load_b32 s2, s[0:1], 0x24
	s_load_b128 s[28:31], s[0:1], 0x8
	s_bfe_u32 s4, ttmp6, 0x4000c
	s_bfe_u32 s5, ttmp6, 0x40010
	s_add_co_i32 s4, s4, 1
	s_add_co_i32 s5, s5, 1
	s_and_b32 s3, ttmp6, 15
	s_bfe_u32 s6, ttmp6, 0x40004
	s_mul_i32 s4, ttmp9, s4
	s_mul_i32 s5, ttmp7, s5
	s_getreg_b32 s7, hwreg(HW_REG_IB_STS2, 6, 4)
	v_bfe_u32 v1, v0, 10, 10
	s_add_co_i32 s3, s3, s4
	s_add_co_i32 s6, s6, s5
	v_and_b32_e32 v0, 0x3ff, v0
	v_dual_mov_b32 v12, 0 :: v_dual_mov_b32 v10, 0
	v_dual_mov_b32 v7, 0 :: v_dual_mov_b32 v4, 0
	;; [unrolled: 1-line block ×3, first 2 shown]
	s_wait_kmcnt 0x0
	s_lshr_b32 s4, s2, 16
	s_and_b32 s2, s2, 0xffff
	s_cmp_eq_u32 s7, 0
	v_dual_mov_b32 v9, 0 :: v_dual_mov_b32 v8, 0
	s_cselect_b32 s5, ttmp7, s6
	s_cselect_b32 s3, ttmp9, s3
	v_mad_u32 v23, s5, s4, v1
	v_mad_u32 v0, s3, s2, v0
	v_dual_mov_b32 v1, 0 :: v_dual_mov_b32 v14, 0
	v_dual_mov_b32 v11, 0 :: v_dual_mov_b32 v13, 0
	;; [unrolled: 1-line block ×4, first 2 shown]
	v_dual_add_nc_u32 v2, -2, v23 :: v_dual_add_nc_u32 v22, -2, v0
	v_cmp_lt_i32_e32 vcc_lo, 1, v23
	v_cmp_lt_i32_e64 s10, 1, v0
	s_delay_alu instid0(VALU_DEP_3) | instskip(SKIP_4) | instid1(SALU_CYCLE_1)
	v_cmp_gt_i32_e64 s2, s30, v2
	v_mul_lo_u32 v18, v2, s31
	v_cmp_gt_i32_e64 s11, s31, v22
	v_mov_b32_e32 v2, 0
	s_and_b32 s24, vcc_lo, s2
	s_and_b32 s2, s10, s24
	s_delay_alu instid0(SALU_CYCLE_1) | instskip(NEXT) | instid1(SALU_CYCLE_1)
	s_and_b32 s3, s11, s2
	s_and_saveexec_b32 s2, s3
	s_cbranch_execz .LBB0_2
; %bb.1:
	v_dual_add_nc_u32 v1, v22, v18 :: v_dual_mov_b32 v17, 1
	global_load_i8 v12, v1, s[28:29]
	s_wait_loadcnt 0x0
	v_cmp_eq_u32_e32 vcc_lo, 15, v12
	v_cndmask_b32_e64 v2, 0, 1, vcc_lo
	v_cmp_eq_u32_e32 vcc_lo, 14, v12
	v_cndmask_b32_e64 v16, 0, 1, vcc_lo
	;; [unrolled: 2-line block ×16, first 2 shown]
.LBB0_2:
	s_or_b32 exec_lo, exec_lo, s2
	v_cmp_lt_i32_e32 vcc_lo, 0, v0
	v_cmp_ge_i32_e64 s4, s31, v0
	v_add_nc_u32_e32 v19, -1, v0
	s_and_b32 s2, vcc_lo, s24
	s_delay_alu instid0(SALU_CYCLE_1) | instskip(NEXT) | instid1(SALU_CYCLE_1)
	s_and_b32 s2, s4, s2
	s_and_saveexec_b32 s20, s2
	s_cbranch_execz .LBB0_4
; %bb.3:
	v_add_nc_u32_e32 v20, v19, v18
	v_add_nc_u16 v17, v17, 1
	global_load_i8 v20, v20, s[28:29]
	s_wait_loadcnt 0x0
	v_cmp_eq_u32_e64 s2, 1, v20
	v_cmp_eq_u32_e64 s3, 2, v20
	;; [unrolled: 1-line block ×5, first 2 shown]
	v_cndmask_b32_e64 v21, v12, v10, s2
	v_cmp_eq_u32_e64 s8, 6, v20
	v_cmp_eq_u32_e64 s9, 7, v20
	;; [unrolled: 1-line block ×4, first 2 shown]
	v_cndmask_b32_e64 v21, v21, v7, s3
	v_cmp_eq_u32_e64 s14, 10, v20
	v_cmp_eq_u32_e64 s15, 11, v20
	;; [unrolled: 1-line block ×4, first 2 shown]
	v_cndmask_b32_e64 v21, v21, v4, s5
	v_cmp_eq_u32_e64 s18, 14, v20
	v_cmp_eq_u32_e64 s19, 15, v20
	s_delay_alu instid0(VALU_DEP_3) | instskip(NEXT) | instid1(VALU_DEP_1)
	v_cndmask_b32_e64 v21, v21, v6, s6
	v_cndmask_b32_e64 v21, v21, v5, s7
	s_delay_alu instid0(VALU_DEP_1) | instskip(NEXT) | instid1(VALU_DEP_1)
	v_cndmask_b32_e64 v21, v21, v9, s8
	v_cndmask_b32_e64 v21, v21, v8, s9
	s_delay_alu instid0(VALU_DEP_1) | instskip(NEXT) | instid1(VALU_DEP_1)
	;; [unrolled: 3-line block ×6, first 2 shown]
	v_add_nc_u16 v21, v21, 1
	v_cndmask_b32_e64 v10, v10, v21, s2
	v_cmp_eq_u32_e64 s2, 0, v20
	v_dual_cndmask_b32 v2, v2, v21, s19 :: v_dual_cndmask_b32 v16, v16, v21, s18
	v_dual_cndmask_b32 v1, v1, v21, s17 :: v_dual_cndmask_b32 v15, v15, v21, s16
	;; [unrolled: 1-line block ×7, first 2 shown]
	v_cndmask_b32_e64 v12, v12, v21, s2
.LBB0_4:
	s_or_b32 exec_lo, exec_lo, s20
	v_cmp_lt_i32_e64 s5, -1, v0
	v_cmp_gt_i32_e64 s2, s31, v0
	s_and_b32 s3, s5, s24
	s_delay_alu instid0(SALU_CYCLE_1) | instskip(NEXT) | instid1(SALU_CYCLE_1)
	s_and_b32 s3, s2, s3
	s_and_saveexec_b32 s22, s3
	s_cbranch_execz .LBB0_6
; %bb.5:
	v_add_nc_u32_e32 v20, v0, v18
	v_add_nc_u16 v17, v17, 1
	global_load_i8 v20, v20, s[28:29]
	s_wait_loadcnt 0x0
	v_cmp_eq_u32_e64 s3, 1, v20
	v_cmp_eq_u32_e64 s6, 2, v20
	;; [unrolled: 1-line block ×5, first 2 shown]
	v_cndmask_b32_e64 v21, v12, v10, s3
	v_cmp_eq_u32_e64 s12, 6, v20
	v_cmp_eq_u32_e64 s13, 7, v20
	;; [unrolled: 1-line block ×4, first 2 shown]
	v_cndmask_b32_e64 v21, v21, v7, s6
	v_cmp_eq_u32_e64 s16, 10, v20
	v_cmp_eq_u32_e64 s17, 11, v20
	v_cmp_eq_u32_e64 s18, 12, v20
	v_cmp_eq_u32_e64 s19, 13, v20
	v_cndmask_b32_e64 v21, v21, v4, s7
	v_cmp_eq_u32_e64 s20, 14, v20
	v_cmp_eq_u32_e64 s21, 15, v20
	s_delay_alu instid0(VALU_DEP_3) | instskip(NEXT) | instid1(VALU_DEP_1)
	v_cndmask_b32_e64 v21, v21, v6, s8
	v_cndmask_b32_e64 v21, v21, v5, s9
	s_delay_alu instid0(VALU_DEP_1) | instskip(NEXT) | instid1(VALU_DEP_1)
	v_cndmask_b32_e64 v21, v21, v9, s12
	v_cndmask_b32_e64 v21, v21, v8, s13
	s_delay_alu instid0(VALU_DEP_1) | instskip(NEXT) | instid1(VALU_DEP_1)
	;; [unrolled: 3-line block ×6, first 2 shown]
	v_add_nc_u16 v21, v21, 1
	v_cndmask_b32_e64 v10, v10, v21, s3
	v_cmp_eq_u32_e64 s3, 0, v20
	v_dual_cndmask_b32 v2, v2, v21, s21 :: v_dual_cndmask_b32 v16, v16, v21, s20
	v_dual_cndmask_b32 v1, v1, v21, s19 :: v_dual_cndmask_b32 v15, v15, v21, s18
	;; [unrolled: 1-line block ×7, first 2 shown]
	v_cndmask_b32_e64 v12, v12, v21, s3
.LBB0_6:
	s_or_b32 exec_lo, exec_lo, s22
	v_add_nc_u32_e32 v20, 1, v0
	v_cmp_lt_i32_e64 s6, -2, v0
	s_delay_alu instid0(VALU_DEP_2) | instskip(SKIP_1) | instid1(SALU_CYCLE_1)
	v_cmp_gt_i32_e64 s7, s31, v20
	s_and_b32 s3, s6, s24
	s_and_b32 s3, s7, s3
	s_delay_alu instid0(SALU_CYCLE_1)
	s_and_saveexec_b32 s25, s3
	s_cbranch_execz .LBB0_8
; %bb.7:
	v_add_nc_u32_e32 v21, v20, v18
	v_add_nc_u16 v17, v17, 1
	global_load_i8 v21, v21, s[28:29]
	s_wait_loadcnt 0x0
	v_cmp_eq_u32_e64 s3, 1, v21
	v_cmp_eq_u32_e64 s8, 2, v21
	;; [unrolled: 1-line block ×5, first 2 shown]
	v_cndmask_b32_e64 v24, v12, v10, s3
	v_cmp_eq_u32_e64 s14, 6, v21
	v_cmp_eq_u32_e64 s15, 7, v21
	;; [unrolled: 1-line block ×4, first 2 shown]
	v_cndmask_b32_e64 v24, v24, v7, s8
	v_cmp_eq_u32_e64 s18, 10, v21
	v_cmp_eq_u32_e64 s19, 11, v21
	;; [unrolled: 1-line block ×4, first 2 shown]
	v_cndmask_b32_e64 v24, v24, v4, s9
	v_cmp_eq_u32_e64 s22, 14, v21
	v_cmp_eq_u32_e64 s23, 15, v21
	s_delay_alu instid0(VALU_DEP_3) | instskip(NEXT) | instid1(VALU_DEP_1)
	v_cndmask_b32_e64 v24, v24, v6, s12
	v_cndmask_b32_e64 v24, v24, v5, s13
	s_delay_alu instid0(VALU_DEP_1) | instskip(NEXT) | instid1(VALU_DEP_1)
	v_cndmask_b32_e64 v24, v24, v9, s14
	v_cndmask_b32_e64 v24, v24, v8, s15
	s_delay_alu instid0(VALU_DEP_1) | instskip(NEXT) | instid1(VALU_DEP_1)
	;; [unrolled: 3-line block ×6, first 2 shown]
	v_add_nc_u16 v24, v24, 1
	v_dual_cndmask_b32 v7, v7, v24, s8 :: v_dual_cndmask_b32 v10, v10, v24, s3
	v_cmp_eq_u32_e64 s3, 0, v21
	v_dual_cndmask_b32 v2, v2, v24, s23 :: v_dual_cndmask_b32 v16, v16, v24, s22
	v_dual_cndmask_b32 v1, v1, v24, s21 :: v_dual_cndmask_b32 v15, v15, v24, s20
	;; [unrolled: 1-line block ×6, first 2 shown]
	v_cndmask_b32_e64 v4, v4, v24, s9
	v_cndmask_b32_e64 v12, v12, v24, s3
.LBB0_8:
	s_or_b32 exec_lo, exec_lo, s25
	v_add_nc_u32_e32 v21, 2, v0
	v_cmp_lt_i32_e64 s8, -3, v0
	s_delay_alu instid0(VALU_DEP_2) | instskip(SKIP_1) | instid1(SALU_CYCLE_1)
	v_cmp_gt_i32_e64 s9, s31, v21
	s_and_b32 s3, s8, s24
	s_and_b32 s3, s9, s3
	s_delay_alu instid0(SALU_CYCLE_1)
	s_and_saveexec_b32 s26, s3
	s_cbranch_execz .LBB0_10
; %bb.9:
	v_add_nc_u32_e32 v24, v21, v18
	v_add_nc_u16 v17, v17, 1
	global_load_i8 v24, v24, s[28:29]
	s_wait_loadcnt 0x0
	v_cmp_eq_u32_e64 s3, 1, v24
	v_cmp_eq_u32_e64 s12, 2, v24
	;; [unrolled: 1-line block ×5, first 2 shown]
	v_cndmask_b32_e64 v25, v12, v10, s3
	v_cmp_eq_u32_e64 s16, 6, v24
	v_cmp_eq_u32_e64 s17, 7, v24
	v_cmp_eq_u32_e64 s18, 8, v24
	v_cmp_eq_u32_e64 s19, 9, v24
	v_cndmask_b32_e64 v25, v25, v7, s12
	v_cmp_eq_u32_e64 s20, 10, v24
	v_cmp_eq_u32_e64 s21, 11, v24
	;; [unrolled: 1-line block ×4, first 2 shown]
	v_cndmask_b32_e64 v25, v25, v4, s13
	v_cmp_eq_u32_e64 s24, 14, v24
	v_cmp_eq_u32_e64 s25, 15, v24
	s_delay_alu instid0(VALU_DEP_3) | instskip(NEXT) | instid1(VALU_DEP_1)
	v_cndmask_b32_e64 v25, v25, v6, s14
	v_cndmask_b32_e64 v25, v25, v5, s15
	s_delay_alu instid0(VALU_DEP_1) | instskip(NEXT) | instid1(VALU_DEP_1)
	v_cndmask_b32_e64 v25, v25, v9, s16
	v_cndmask_b32_e64 v25, v25, v8, s17
	s_delay_alu instid0(VALU_DEP_1) | instskip(NEXT) | instid1(VALU_DEP_1)
	;; [unrolled: 3-line block ×6, first 2 shown]
	v_add_nc_u16 v25, v25, 1
	v_dual_cndmask_b32 v7, v7, v25, s12 :: v_dual_cndmask_b32 v10, v10, v25, s3
	v_cmp_eq_u32_e64 s3, 0, v24
	v_dual_cndmask_b32 v2, v2, v25, s25 :: v_dual_cndmask_b32 v16, v16, v25, s24
	v_dual_cndmask_b32 v1, v1, v25, s23 :: v_dual_cndmask_b32 v15, v15, v25, s22
	;; [unrolled: 1-line block ×6, first 2 shown]
	v_cndmask_b32_e64 v4, v4, v25, s13
	v_cndmask_b32_e64 v12, v12, v25, s3
.LBB0_10:
	s_or_b32 exec_lo, exec_lo, s26
	v_cmp_lt_i32_e64 s3, 0, v23
	v_cmp_ge_i32_e64 s12, s30, v23
	v_add_nc_u32_e32 v18, s31, v18
	s_and_b32 s26, s3, s12
	s_delay_alu instid0(SALU_CYCLE_1) | instskip(NEXT) | instid1(SALU_CYCLE_1)
	s_and_b32 s3, s10, s26
	s_and_b32 s3, s11, s3
	s_delay_alu instid0(SALU_CYCLE_1)
	s_and_saveexec_b32 s27, s3
	s_cbranch_execz .LBB0_12
; %bb.11:
	v_add_nc_u32_e32 v24, v22, v18
	v_add_nc_u16 v17, v17, 1
	global_load_i8 v24, v24, s[28:29]
	s_wait_loadcnt 0x0
	v_cmp_eq_u32_e64 s3, 1, v24
	v_cmp_eq_u32_e64 s12, 2, v24
	;; [unrolled: 1-line block ×5, first 2 shown]
	v_cndmask_b32_e64 v25, v12, v10, s3
	v_cmp_eq_u32_e64 s16, 6, v24
	v_cmp_eq_u32_e64 s17, 7, v24
	;; [unrolled: 1-line block ×4, first 2 shown]
	v_cndmask_b32_e64 v25, v25, v7, s12
	v_cmp_eq_u32_e64 s20, 10, v24
	v_cmp_eq_u32_e64 s21, 11, v24
	;; [unrolled: 1-line block ×4, first 2 shown]
	v_cndmask_b32_e64 v25, v25, v4, s13
	v_cmp_eq_u32_e64 s24, 14, v24
	v_cmp_eq_u32_e64 s25, 15, v24
	s_delay_alu instid0(VALU_DEP_3) | instskip(NEXT) | instid1(VALU_DEP_1)
	v_cndmask_b32_e64 v25, v25, v6, s14
	v_cndmask_b32_e64 v25, v25, v5, s15
	s_delay_alu instid0(VALU_DEP_1) | instskip(NEXT) | instid1(VALU_DEP_1)
	v_cndmask_b32_e64 v25, v25, v9, s16
	v_cndmask_b32_e64 v25, v25, v8, s17
	s_delay_alu instid0(VALU_DEP_1) | instskip(NEXT) | instid1(VALU_DEP_1)
	;; [unrolled: 3-line block ×6, first 2 shown]
	v_add_nc_u16 v25, v25, 1
	v_cndmask_b32_e64 v10, v10, v25, s3
	v_cmp_eq_u32_e64 s3, 0, v24
	v_dual_cndmask_b32 v2, v2, v25, s25 :: v_dual_cndmask_b32 v16, v16, v25, s24
	v_dual_cndmask_b32 v1, v1, v25, s23 :: v_dual_cndmask_b32 v15, v15, v25, s22
	;; [unrolled: 1-line block ×7, first 2 shown]
	v_cndmask_b32_e64 v12, v12, v25, s3
.LBB0_12:
	s_or_b32 exec_lo, exec_lo, s27
	s_and_b32 s3, vcc_lo, s26
	s_delay_alu instid0(SALU_CYCLE_1) | instskip(NEXT) | instid1(SALU_CYCLE_1)
	s_and_b32 s3, s4, s3
	s_and_saveexec_b32 s27, s3
	s_cbranch_execz .LBB0_14
; %bb.13:
	v_add_nc_u32_e32 v24, v19, v18
	v_add_nc_u16 v17, v17, 1
	global_load_i8 v24, v24, s[28:29]
	s_wait_loadcnt 0x0
	v_cmp_eq_u32_e64 s3, 1, v24
	v_cmp_eq_u32_e64 s12, 2, v24
	v_cmp_eq_u32_e64 s13, 3, v24
	v_cmp_eq_u32_e64 s14, 4, v24
	v_cmp_eq_u32_e64 s15, 5, v24
	v_cndmask_b32_e64 v25, v12, v10, s3
	v_cmp_eq_u32_e64 s16, 6, v24
	v_cmp_eq_u32_e64 s17, 7, v24
	v_cmp_eq_u32_e64 s18, 8, v24
	v_cmp_eq_u32_e64 s19, 9, v24
	v_cndmask_b32_e64 v25, v25, v7, s12
	v_cmp_eq_u32_e64 s20, 10, v24
	v_cmp_eq_u32_e64 s21, 11, v24
	v_cmp_eq_u32_e64 s22, 12, v24
	v_cmp_eq_u32_e64 s23, 13, v24
	v_cndmask_b32_e64 v25, v25, v4, s13
	v_cmp_eq_u32_e64 s24, 14, v24
	v_cmp_eq_u32_e64 s25, 15, v24
	s_delay_alu instid0(VALU_DEP_3) | instskip(NEXT) | instid1(VALU_DEP_1)
	v_cndmask_b32_e64 v25, v25, v6, s14
	v_cndmask_b32_e64 v25, v25, v5, s15
	s_delay_alu instid0(VALU_DEP_1) | instskip(NEXT) | instid1(VALU_DEP_1)
	v_cndmask_b32_e64 v25, v25, v9, s16
	v_cndmask_b32_e64 v25, v25, v8, s17
	s_delay_alu instid0(VALU_DEP_1) | instskip(NEXT) | instid1(VALU_DEP_1)
	v_cndmask_b32_e64 v25, v25, v14, s18
	v_cndmask_b32_e64 v25, v25, v11, s19
	s_delay_alu instid0(VALU_DEP_1) | instskip(NEXT) | instid1(VALU_DEP_1)
	v_cndmask_b32_e64 v25, v25, v13, s20
	v_cndmask_b32_e64 v25, v25, v3, s21
	s_delay_alu instid0(VALU_DEP_1) | instskip(NEXT) | instid1(VALU_DEP_1)
	v_cndmask_b32_e64 v25, v25, v15, s22
	v_cndmask_b32_e64 v25, v25, v1, s23
	s_delay_alu instid0(VALU_DEP_1) | instskip(NEXT) | instid1(VALU_DEP_1)
	v_cndmask_b32_e64 v25, v25, v16, s24
	v_cndmask_b32_e64 v25, v25, v2, s25
	s_delay_alu instid0(VALU_DEP_1) | instskip(NEXT) | instid1(VALU_DEP_1)
	v_add_nc_u16 v25, v25, 1
	v_cndmask_b32_e64 v10, v10, v25, s3
	v_cmp_eq_u32_e64 s3, 0, v24
	v_dual_cndmask_b32 v2, v2, v25, s25 :: v_dual_cndmask_b32 v16, v16, v25, s24
	v_dual_cndmask_b32 v1, v1, v25, s23 :: v_dual_cndmask_b32 v15, v15, v25, s22
	v_dual_cndmask_b32 v3, v3, v25, s21 :: v_dual_cndmask_b32 v13, v13, v25, s20
	v_dual_cndmask_b32 v11, v11, v25, s19 :: v_dual_cndmask_b32 v14, v14, v25, s18
	v_dual_cndmask_b32 v8, v8, v25, s17 :: v_dual_cndmask_b32 v9, v9, v25, s16
	v_dual_cndmask_b32 v5, v5, v25, s15 :: v_dual_cndmask_b32 v6, v6, v25, s14
	v_dual_cndmask_b32 v4, v4, v25, s13 :: v_dual_cndmask_b32 v7, v7, v25, s12
	v_cndmask_b32_e64 v12, v12, v25, s3
.LBB0_14:
	s_or_b32 exec_lo, exec_lo, s27
	s_and_b32 s3, s5, s26
	s_delay_alu instid0(SALU_CYCLE_1) | instskip(NEXT) | instid1(SALU_CYCLE_1)
	s_and_b32 s3, s2, s3
	s_and_saveexec_b32 s27, s3
	s_cbranch_execz .LBB0_16
; %bb.15:
	v_add_nc_u32_e32 v24, v0, v18
	v_add_nc_u16 v17, v17, 1
	global_load_i8 v24, v24, s[28:29]
	s_wait_loadcnt 0x0
	v_cmp_eq_u32_e64 s3, 1, v24
	v_cmp_eq_u32_e64 s12, 2, v24
	v_cmp_eq_u32_e64 s13, 3, v24
	v_cmp_eq_u32_e64 s14, 4, v24
	v_cmp_eq_u32_e64 s15, 5, v24
	v_cndmask_b32_e64 v25, v12, v10, s3
	v_cmp_eq_u32_e64 s16, 6, v24
	v_cmp_eq_u32_e64 s17, 7, v24
	v_cmp_eq_u32_e64 s18, 8, v24
	v_cmp_eq_u32_e64 s19, 9, v24
	v_cndmask_b32_e64 v25, v25, v7, s12
	v_cmp_eq_u32_e64 s20, 10, v24
	v_cmp_eq_u32_e64 s21, 11, v24
	v_cmp_eq_u32_e64 s22, 12, v24
	v_cmp_eq_u32_e64 s23, 13, v24
	v_cndmask_b32_e64 v25, v25, v4, s13
	v_cmp_eq_u32_e64 s24, 14, v24
	v_cmp_eq_u32_e64 s25, 15, v24
	s_delay_alu instid0(VALU_DEP_3) | instskip(NEXT) | instid1(VALU_DEP_1)
	v_cndmask_b32_e64 v25, v25, v6, s14
	v_cndmask_b32_e64 v25, v25, v5, s15
	s_delay_alu instid0(VALU_DEP_1) | instskip(NEXT) | instid1(VALU_DEP_1)
	v_cndmask_b32_e64 v25, v25, v9, s16
	v_cndmask_b32_e64 v25, v25, v8, s17
	s_delay_alu instid0(VALU_DEP_1) | instskip(NEXT) | instid1(VALU_DEP_1)
	v_cndmask_b32_e64 v25, v25, v14, s18
	v_cndmask_b32_e64 v25, v25, v11, s19
	s_delay_alu instid0(VALU_DEP_1) | instskip(NEXT) | instid1(VALU_DEP_1)
	v_cndmask_b32_e64 v25, v25, v13, s20
	v_cndmask_b32_e64 v25, v25, v3, s21
	s_delay_alu instid0(VALU_DEP_1) | instskip(NEXT) | instid1(VALU_DEP_1)
	v_cndmask_b32_e64 v25, v25, v15, s22
	v_cndmask_b32_e64 v25, v25, v1, s23
	s_delay_alu instid0(VALU_DEP_1) | instskip(NEXT) | instid1(VALU_DEP_1)
	v_cndmask_b32_e64 v25, v25, v16, s24
	v_cndmask_b32_e64 v25, v25, v2, s25
	s_delay_alu instid0(VALU_DEP_1) | instskip(NEXT) | instid1(VALU_DEP_1)
	v_add_nc_u16 v25, v25, 1
	v_cndmask_b32_e64 v10, v10, v25, s3
	v_cmp_eq_u32_e64 s3, 0, v24
	v_dual_cndmask_b32 v2, v2, v25, s25 :: v_dual_cndmask_b32 v16, v16, v25, s24
	v_dual_cndmask_b32 v1, v1, v25, s23 :: v_dual_cndmask_b32 v15, v15, v25, s22
	v_dual_cndmask_b32 v3, v3, v25, s21 :: v_dual_cndmask_b32 v13, v13, v25, s20
	v_dual_cndmask_b32 v11, v11, v25, s19 :: v_dual_cndmask_b32 v14, v14, v25, s18
	v_dual_cndmask_b32 v8, v8, v25, s17 :: v_dual_cndmask_b32 v9, v9, v25, s16
	v_dual_cndmask_b32 v5, v5, v25, s15 :: v_dual_cndmask_b32 v6, v6, v25, s14
	v_dual_cndmask_b32 v4, v4, v25, s13 :: v_dual_cndmask_b32 v7, v7, v25, s12
	v_cndmask_b32_e64 v12, v12, v25, s3
.LBB0_16:
	s_or_b32 exec_lo, exec_lo, s27
	s_and_b32 s3, s6, s26
	;; [unrolled: 60-line block ×3, first 2 shown]
	s_delay_alu instid0(SALU_CYCLE_1) | instskip(NEXT) | instid1(SALU_CYCLE_1)
	s_and_b32 s3, s9, s3
	s_and_saveexec_b32 s26, s3
	s_cbranch_execz .LBB0_20
; %bb.19:
	v_add_nc_u32_e32 v18, v21, v18
	v_add_nc_u16 v17, v17, 1
	global_load_i8 v18, v18, s[28:29]
	s_wait_loadcnt 0x0
	v_cmp_eq_u32_e64 s3, 1, v18
	v_cmp_eq_u32_e64 s12, 2, v18
	;; [unrolled: 1-line block ×5, first 2 shown]
	v_cndmask_b32_e64 v24, v12, v10, s3
	v_cmp_eq_u32_e64 s16, 6, v18
	v_cmp_eq_u32_e64 s17, 7, v18
	;; [unrolled: 1-line block ×4, first 2 shown]
	v_cndmask_b32_e64 v24, v24, v7, s12
	v_cmp_eq_u32_e64 s20, 10, v18
	v_cmp_eq_u32_e64 s21, 11, v18
	;; [unrolled: 1-line block ×4, first 2 shown]
	v_cndmask_b32_e64 v24, v24, v4, s13
	v_cmp_eq_u32_e64 s24, 14, v18
	v_cmp_eq_u32_e64 s25, 15, v18
	s_delay_alu instid0(VALU_DEP_3) | instskip(NEXT) | instid1(VALU_DEP_1)
	v_cndmask_b32_e64 v24, v24, v6, s14
	v_cndmask_b32_e64 v24, v24, v5, s15
	s_delay_alu instid0(VALU_DEP_1) | instskip(NEXT) | instid1(VALU_DEP_1)
	v_cndmask_b32_e64 v24, v24, v9, s16
	v_cndmask_b32_e64 v24, v24, v8, s17
	s_delay_alu instid0(VALU_DEP_1) | instskip(NEXT) | instid1(VALU_DEP_1)
	;; [unrolled: 3-line block ×6, first 2 shown]
	v_add_nc_u16 v24, v24, 1
	v_cndmask_b32_e64 v10, v10, v24, s3
	v_cmp_eq_u32_e64 s3, 0, v18
	v_dual_cndmask_b32 v2, v2, v24, s25 :: v_dual_cndmask_b32 v16, v16, v24, s24
	v_dual_cndmask_b32 v1, v1, v24, s23 :: v_dual_cndmask_b32 v15, v15, v24, s22
	;; [unrolled: 1-line block ×7, first 2 shown]
	v_cndmask_b32_e64 v12, v12, v24, s3
.LBB0_20:
	s_or_b32 exec_lo, exec_lo, s26
	v_cmp_lt_i32_e64 s12, -1, v23
	v_cmp_gt_i32_e64 s3, s30, v23
	v_mul_lo_u32 v18, v23, s31
	s_and_b32 s27, s12, s3
	s_delay_alu instid0(SALU_CYCLE_1) | instskip(NEXT) | instid1(SALU_CYCLE_1)
	s_and_b32 s12, s10, s27
	s_and_b32 s12, s11, s12
	s_delay_alu instid0(SALU_CYCLE_1)
	s_and_saveexec_b32 s33, s12
	s_cbranch_execz .LBB0_22
; %bb.21:
	s_delay_alu instid0(VALU_DEP_1)
	v_add_nc_u32_e32 v24, v22, v18
	v_add_nc_u16 v17, v17, 1
	global_load_i8 v24, v24, s[28:29]
	s_wait_loadcnt 0x0
	v_cmp_eq_u32_e64 s12, 1, v24
	v_cmp_eq_u32_e64 s13, 2, v24
	;; [unrolled: 1-line block ×5, first 2 shown]
	v_cndmask_b32_e64 v25, v12, v10, s12
	v_cmp_eq_u32_e64 s17, 6, v24
	v_cmp_eq_u32_e64 s18, 7, v24
	;; [unrolled: 1-line block ×4, first 2 shown]
	v_cndmask_b32_e64 v25, v25, v7, s13
	v_cmp_eq_u32_e64 s21, 10, v24
	v_cmp_eq_u32_e64 s22, 11, v24
	;; [unrolled: 1-line block ×4, first 2 shown]
	v_cndmask_b32_e64 v25, v25, v4, s14
	v_cmp_eq_u32_e64 s25, 14, v24
	v_cmp_eq_u32_e64 s26, 15, v24
	s_delay_alu instid0(VALU_DEP_3) | instskip(NEXT) | instid1(VALU_DEP_1)
	v_cndmask_b32_e64 v25, v25, v6, s15
	v_cndmask_b32_e64 v25, v25, v5, s16
	s_delay_alu instid0(VALU_DEP_1) | instskip(NEXT) | instid1(VALU_DEP_1)
	v_cndmask_b32_e64 v25, v25, v9, s17
	v_cndmask_b32_e64 v25, v25, v8, s18
	s_delay_alu instid0(VALU_DEP_1) | instskip(NEXT) | instid1(VALU_DEP_1)
	v_cndmask_b32_e64 v25, v25, v14, s19
	v_cndmask_b32_e64 v25, v25, v11, s20
	s_delay_alu instid0(VALU_DEP_1) | instskip(NEXT) | instid1(VALU_DEP_1)
	v_cndmask_b32_e64 v25, v25, v13, s21
	v_cndmask_b32_e64 v25, v25, v3, s22
	s_delay_alu instid0(VALU_DEP_1) | instskip(NEXT) | instid1(VALU_DEP_1)
	v_cndmask_b32_e64 v25, v25, v15, s23
	v_cndmask_b32_e64 v25, v25, v1, s24
	s_delay_alu instid0(VALU_DEP_1) | instskip(NEXT) | instid1(VALU_DEP_1)
	v_cndmask_b32_e64 v25, v25, v16, s25
	v_cndmask_b32_e64 v25, v25, v2, s26
	s_delay_alu instid0(VALU_DEP_1) | instskip(NEXT) | instid1(VALU_DEP_1)
	v_add_nc_u16 v25, v25, 1
	v_cndmask_b32_e64 v10, v10, v25, s12
	v_cmp_eq_u32_e64 s12, 0, v24
	v_dual_cndmask_b32 v2, v2, v25, s26 :: v_dual_cndmask_b32 v16, v16, v25, s25
	v_dual_cndmask_b32 v1, v1, v25, s24 :: v_dual_cndmask_b32 v15, v15, v25, s23
	;; [unrolled: 1-line block ×7, first 2 shown]
	v_cndmask_b32_e64 v12, v12, v25, s12
.LBB0_22:
	s_or_b32 exec_lo, exec_lo, s33
	s_and_b32 s12, vcc_lo, s27
	s_delay_alu instid0(SALU_CYCLE_1) | instskip(NEXT) | instid1(SALU_CYCLE_1)
	s_and_b32 s12, s4, s12
	s_and_saveexec_b32 s33, s12
	s_cbranch_execz .LBB0_24
; %bb.23:
	v_add_nc_u32_e32 v24, v19, v18
	v_add_nc_u16 v17, v17, 1
	global_load_i8 v24, v24, s[28:29]
	s_wait_loadcnt 0x0
	v_cmp_eq_u32_e64 s12, 1, v24
	v_cmp_eq_u32_e64 s13, 2, v24
	v_cmp_eq_u32_e64 s14, 3, v24
	v_cmp_eq_u32_e64 s15, 4, v24
	v_cmp_eq_u32_e64 s16, 5, v24
	v_cndmask_b32_e64 v25, v12, v10, s12
	v_cmp_eq_u32_e64 s17, 6, v24
	v_cmp_eq_u32_e64 s18, 7, v24
	v_cmp_eq_u32_e64 s19, 8, v24
	v_cmp_eq_u32_e64 s20, 9, v24
	v_cndmask_b32_e64 v25, v25, v7, s13
	v_cmp_eq_u32_e64 s21, 10, v24
	v_cmp_eq_u32_e64 s22, 11, v24
	v_cmp_eq_u32_e64 s23, 12, v24
	v_cmp_eq_u32_e64 s24, 13, v24
	v_cndmask_b32_e64 v25, v25, v4, s14
	v_cmp_eq_u32_e64 s25, 14, v24
	v_cmp_eq_u32_e64 s26, 15, v24
	s_delay_alu instid0(VALU_DEP_3) | instskip(NEXT) | instid1(VALU_DEP_1)
	v_cndmask_b32_e64 v25, v25, v6, s15
	v_cndmask_b32_e64 v25, v25, v5, s16
	s_delay_alu instid0(VALU_DEP_1) | instskip(NEXT) | instid1(VALU_DEP_1)
	v_cndmask_b32_e64 v25, v25, v9, s17
	v_cndmask_b32_e64 v25, v25, v8, s18
	s_delay_alu instid0(VALU_DEP_1) | instskip(NEXT) | instid1(VALU_DEP_1)
	v_cndmask_b32_e64 v25, v25, v14, s19
	v_cndmask_b32_e64 v25, v25, v11, s20
	s_delay_alu instid0(VALU_DEP_1) | instskip(NEXT) | instid1(VALU_DEP_1)
	v_cndmask_b32_e64 v25, v25, v13, s21
	v_cndmask_b32_e64 v25, v25, v3, s22
	s_delay_alu instid0(VALU_DEP_1) | instskip(NEXT) | instid1(VALU_DEP_1)
	v_cndmask_b32_e64 v25, v25, v15, s23
	v_cndmask_b32_e64 v25, v25, v1, s24
	s_delay_alu instid0(VALU_DEP_1) | instskip(NEXT) | instid1(VALU_DEP_1)
	v_cndmask_b32_e64 v25, v25, v16, s25
	v_cndmask_b32_e64 v25, v25, v2, s26
	s_delay_alu instid0(VALU_DEP_1) | instskip(NEXT) | instid1(VALU_DEP_1)
	v_add_nc_u16 v25, v25, 1
	v_cndmask_b32_e64 v10, v10, v25, s12
	v_cmp_eq_u32_e64 s12, 0, v24
	v_dual_cndmask_b32 v2, v2, v25, s26 :: v_dual_cndmask_b32 v16, v16, v25, s25
	v_dual_cndmask_b32 v1, v1, v25, s24 :: v_dual_cndmask_b32 v15, v15, v25, s23
	v_dual_cndmask_b32 v3, v3, v25, s22 :: v_dual_cndmask_b32 v13, v13, v25, s21
	v_dual_cndmask_b32 v11, v11, v25, s20 :: v_dual_cndmask_b32 v14, v14, v25, s19
	v_dual_cndmask_b32 v8, v8, v25, s18 :: v_dual_cndmask_b32 v9, v9, v25, s17
	v_dual_cndmask_b32 v5, v5, v25, s16 :: v_dual_cndmask_b32 v6, v6, v25, s15
	v_dual_cndmask_b32 v4, v4, v25, s14 :: v_dual_cndmask_b32 v7, v7, v25, s13
	v_cndmask_b32_e64 v12, v12, v25, s12
.LBB0_24:
	s_or_b32 exec_lo, exec_lo, s33
	s_and_b32 s12, s5, s27
	s_delay_alu instid0(SALU_CYCLE_1) | instskip(NEXT) | instid1(SALU_CYCLE_1)
	s_and_b32 s12, s2, s12
	s_and_saveexec_b32 s33, s12
	s_cbranch_execz .LBB0_26
; %bb.25:
	v_add_nc_u32_e32 v24, v0, v18
	v_add_nc_u16 v17, v17, 1
	global_load_i8 v24, v24, s[28:29]
	s_wait_loadcnt 0x0
	v_cmp_eq_u32_e64 s12, 1, v24
	v_cmp_eq_u32_e64 s13, 2, v24
	v_cmp_eq_u32_e64 s14, 3, v24
	v_cmp_eq_u32_e64 s15, 4, v24
	v_cmp_eq_u32_e64 s16, 5, v24
	v_cndmask_b32_e64 v25, v12, v10, s12
	v_cmp_eq_u32_e64 s17, 6, v24
	v_cmp_eq_u32_e64 s18, 7, v24
	v_cmp_eq_u32_e64 s19, 8, v24
	v_cmp_eq_u32_e64 s20, 9, v24
	v_cndmask_b32_e64 v25, v25, v7, s13
	v_cmp_eq_u32_e64 s21, 10, v24
	v_cmp_eq_u32_e64 s22, 11, v24
	v_cmp_eq_u32_e64 s23, 12, v24
	v_cmp_eq_u32_e64 s24, 13, v24
	v_cndmask_b32_e64 v25, v25, v4, s14
	v_cmp_eq_u32_e64 s25, 14, v24
	v_cmp_eq_u32_e64 s26, 15, v24
	s_delay_alu instid0(VALU_DEP_3) | instskip(NEXT) | instid1(VALU_DEP_1)
	v_cndmask_b32_e64 v25, v25, v6, s15
	v_cndmask_b32_e64 v25, v25, v5, s16
	s_delay_alu instid0(VALU_DEP_1) | instskip(NEXT) | instid1(VALU_DEP_1)
	v_cndmask_b32_e64 v25, v25, v9, s17
	v_cndmask_b32_e64 v25, v25, v8, s18
	s_delay_alu instid0(VALU_DEP_1) | instskip(NEXT) | instid1(VALU_DEP_1)
	v_cndmask_b32_e64 v25, v25, v14, s19
	v_cndmask_b32_e64 v25, v25, v11, s20
	s_delay_alu instid0(VALU_DEP_1) | instskip(NEXT) | instid1(VALU_DEP_1)
	v_cndmask_b32_e64 v25, v25, v13, s21
	v_cndmask_b32_e64 v25, v25, v3, s22
	s_delay_alu instid0(VALU_DEP_1) | instskip(NEXT) | instid1(VALU_DEP_1)
	v_cndmask_b32_e64 v25, v25, v15, s23
	v_cndmask_b32_e64 v25, v25, v1, s24
	s_delay_alu instid0(VALU_DEP_1) | instskip(NEXT) | instid1(VALU_DEP_1)
	v_cndmask_b32_e64 v25, v25, v16, s25
	v_cndmask_b32_e64 v25, v25, v2, s26
	s_delay_alu instid0(VALU_DEP_1) | instskip(NEXT) | instid1(VALU_DEP_1)
	v_add_nc_u16 v25, v25, 1
	v_cndmask_b32_e64 v10, v10, v25, s12
	v_cmp_eq_u32_e64 s12, 0, v24
	v_dual_cndmask_b32 v2, v2, v25, s26 :: v_dual_cndmask_b32 v16, v16, v25, s25
	v_dual_cndmask_b32 v1, v1, v25, s24 :: v_dual_cndmask_b32 v15, v15, v25, s23
	v_dual_cndmask_b32 v3, v3, v25, s22 :: v_dual_cndmask_b32 v13, v13, v25, s21
	v_dual_cndmask_b32 v11, v11, v25, s20 :: v_dual_cndmask_b32 v14, v14, v25, s19
	v_dual_cndmask_b32 v8, v8, v25, s18 :: v_dual_cndmask_b32 v9, v9, v25, s17
	v_dual_cndmask_b32 v5, v5, v25, s16 :: v_dual_cndmask_b32 v6, v6, v25, s15
	v_dual_cndmask_b32 v4, v4, v25, s14 :: v_dual_cndmask_b32 v7, v7, v25, s13
	v_cndmask_b32_e64 v12, v12, v25, s12
.LBB0_26:
	s_or_b32 exec_lo, exec_lo, s33
	s_and_b32 s12, s6, s27
	;; [unrolled: 60-line block ×3, first 2 shown]
	s_delay_alu instid0(SALU_CYCLE_1) | instskip(NEXT) | instid1(SALU_CYCLE_1)
	s_and_b32 s12, s9, s12
	s_and_saveexec_b32 s27, s12
	s_cbranch_execz .LBB0_30
; %bb.29:
	v_add_nc_u32_e32 v24, v21, v18
	v_add_nc_u16 v17, v17, 1
	global_load_i8 v24, v24, s[28:29]
	s_wait_loadcnt 0x0
	v_cmp_eq_u32_e64 s12, 1, v24
	v_cmp_eq_u32_e64 s13, 2, v24
	;; [unrolled: 1-line block ×5, first 2 shown]
	v_cndmask_b32_e64 v25, v12, v10, s12
	v_cmp_eq_u32_e64 s17, 6, v24
	v_cmp_eq_u32_e64 s18, 7, v24
	;; [unrolled: 1-line block ×4, first 2 shown]
	v_cndmask_b32_e64 v25, v25, v7, s13
	v_cmp_eq_u32_e64 s21, 10, v24
	v_cmp_eq_u32_e64 s22, 11, v24
	;; [unrolled: 1-line block ×4, first 2 shown]
	v_cndmask_b32_e64 v25, v25, v4, s14
	v_cmp_eq_u32_e64 s25, 14, v24
	v_cmp_eq_u32_e64 s26, 15, v24
	s_delay_alu instid0(VALU_DEP_3) | instskip(NEXT) | instid1(VALU_DEP_1)
	v_cndmask_b32_e64 v25, v25, v6, s15
	v_cndmask_b32_e64 v25, v25, v5, s16
	s_delay_alu instid0(VALU_DEP_1) | instskip(NEXT) | instid1(VALU_DEP_1)
	v_cndmask_b32_e64 v25, v25, v9, s17
	v_cndmask_b32_e64 v25, v25, v8, s18
	s_delay_alu instid0(VALU_DEP_1) | instskip(NEXT) | instid1(VALU_DEP_1)
	;; [unrolled: 3-line block ×6, first 2 shown]
	v_add_nc_u16 v25, v25, 1
	v_dual_cndmask_b32 v7, v7, v25, s13 :: v_dual_cndmask_b32 v10, v10, v25, s12
	v_cmp_eq_u32_e64 s12, 0, v24
	v_dual_cndmask_b32 v2, v2, v25, s26 :: v_dual_cndmask_b32 v16, v16, v25, s25
	v_dual_cndmask_b32 v1, v1, v25, s24 :: v_dual_cndmask_b32 v15, v15, v25, s23
	;; [unrolled: 1-line block ×6, first 2 shown]
	v_cndmask_b32_e64 v4, v4, v25, s14
	v_cndmask_b32_e64 v12, v12, v25, s12
.LBB0_30:
	s_or_b32 exec_lo, exec_lo, s27
	v_add_nc_u32_e32 v24, 1, v23
	v_cmp_lt_i32_e64 s12, -2, v23
	s_delay_alu instid0(VALU_DEP_2) | instskip(SKIP_2) | instid1(SALU_CYCLE_1)
	v_cmp_gt_i32_e64 s13, s30, v24
	v_add_nc_u32_e32 v24, s31, v18
	s_and_b32 s27, s12, s13
	s_and_b32 s12, s10, s27
	s_delay_alu instid0(SALU_CYCLE_1) | instskip(NEXT) | instid1(SALU_CYCLE_1)
	s_and_b32 s12, s11, s12
	s_and_saveexec_b32 s33, s12
	s_cbranch_execz .LBB0_32
; %bb.31:
	v_add_nc_u32_e32 v25, v22, v24
	v_add_nc_u16 v17, v17, 1
	global_load_i8 v25, v25, s[28:29]
	s_wait_loadcnt 0x0
	v_cmp_eq_u32_e64 s12, 1, v25
	v_cmp_eq_u32_e64 s13, 2, v25
	v_cmp_eq_u32_e64 s14, 3, v25
	v_cmp_eq_u32_e64 s15, 4, v25
	v_cmp_eq_u32_e64 s16, 5, v25
	v_cndmask_b32_e64 v26, v12, v10, s12
	v_cmp_eq_u32_e64 s17, 6, v25
	v_cmp_eq_u32_e64 s18, 7, v25
	v_cmp_eq_u32_e64 s19, 8, v25
	v_cmp_eq_u32_e64 s20, 9, v25
	v_cndmask_b32_e64 v26, v26, v7, s13
	v_cmp_eq_u32_e64 s21, 10, v25
	v_cmp_eq_u32_e64 s22, 11, v25
	;; [unrolled: 1-line block ×4, first 2 shown]
	v_cndmask_b32_e64 v26, v26, v4, s14
	v_cmp_eq_u32_e64 s25, 14, v25
	v_cmp_eq_u32_e64 s26, 15, v25
	s_delay_alu instid0(VALU_DEP_3) | instskip(NEXT) | instid1(VALU_DEP_1)
	v_cndmask_b32_e64 v26, v26, v6, s15
	v_cndmask_b32_e64 v26, v26, v5, s16
	s_delay_alu instid0(VALU_DEP_1) | instskip(NEXT) | instid1(VALU_DEP_1)
	v_cndmask_b32_e64 v26, v26, v9, s17
	v_cndmask_b32_e64 v26, v26, v8, s18
	s_delay_alu instid0(VALU_DEP_1) | instskip(NEXT) | instid1(VALU_DEP_1)
	;; [unrolled: 3-line block ×6, first 2 shown]
	v_add_nc_u16 v26, v26, 1
	v_cndmask_b32_e64 v10, v10, v26, s12
	v_cmp_eq_u32_e64 s12, 0, v25
	v_dual_cndmask_b32 v2, v2, v26, s26 :: v_dual_cndmask_b32 v16, v16, v26, s25
	v_dual_cndmask_b32 v1, v1, v26, s24 :: v_dual_cndmask_b32 v15, v15, v26, s23
	;; [unrolled: 1-line block ×7, first 2 shown]
	v_cndmask_b32_e64 v12, v12, v26, s12
.LBB0_32:
	s_or_b32 exec_lo, exec_lo, s33
	s_and_b32 s12, vcc_lo, s27
	s_delay_alu instid0(SALU_CYCLE_1) | instskip(NEXT) | instid1(SALU_CYCLE_1)
	s_and_b32 s12, s4, s12
	s_and_saveexec_b32 s33, s12
	s_cbranch_execz .LBB0_34
; %bb.33:
	v_add_nc_u32_e32 v25, v19, v24
	v_add_nc_u16 v17, v17, 1
	global_load_i8 v25, v25, s[28:29]
	s_wait_loadcnt 0x0
	v_cmp_eq_u32_e64 s12, 1, v25
	v_cmp_eq_u32_e64 s13, 2, v25
	v_cmp_eq_u32_e64 s14, 3, v25
	v_cmp_eq_u32_e64 s15, 4, v25
	v_cmp_eq_u32_e64 s16, 5, v25
	v_cndmask_b32_e64 v26, v12, v10, s12
	v_cmp_eq_u32_e64 s17, 6, v25
	v_cmp_eq_u32_e64 s18, 7, v25
	v_cmp_eq_u32_e64 s19, 8, v25
	v_cmp_eq_u32_e64 s20, 9, v25
	v_cndmask_b32_e64 v26, v26, v7, s13
	v_cmp_eq_u32_e64 s21, 10, v25
	v_cmp_eq_u32_e64 s22, 11, v25
	v_cmp_eq_u32_e64 s23, 12, v25
	v_cmp_eq_u32_e64 s24, 13, v25
	v_cndmask_b32_e64 v26, v26, v4, s14
	v_cmp_eq_u32_e64 s25, 14, v25
	v_cmp_eq_u32_e64 s26, 15, v25
	s_delay_alu instid0(VALU_DEP_3) | instskip(NEXT) | instid1(VALU_DEP_1)
	v_cndmask_b32_e64 v26, v26, v6, s15
	v_cndmask_b32_e64 v26, v26, v5, s16
	s_delay_alu instid0(VALU_DEP_1) | instskip(NEXT) | instid1(VALU_DEP_1)
	v_cndmask_b32_e64 v26, v26, v9, s17
	v_cndmask_b32_e64 v26, v26, v8, s18
	s_delay_alu instid0(VALU_DEP_1) | instskip(NEXT) | instid1(VALU_DEP_1)
	v_cndmask_b32_e64 v26, v26, v14, s19
	v_cndmask_b32_e64 v26, v26, v11, s20
	s_delay_alu instid0(VALU_DEP_1) | instskip(NEXT) | instid1(VALU_DEP_1)
	v_cndmask_b32_e64 v26, v26, v13, s21
	v_cndmask_b32_e64 v26, v26, v3, s22
	s_delay_alu instid0(VALU_DEP_1) | instskip(NEXT) | instid1(VALU_DEP_1)
	v_cndmask_b32_e64 v26, v26, v15, s23
	v_cndmask_b32_e64 v26, v26, v1, s24
	s_delay_alu instid0(VALU_DEP_1) | instskip(NEXT) | instid1(VALU_DEP_1)
	v_cndmask_b32_e64 v26, v26, v16, s25
	v_cndmask_b32_e64 v26, v26, v2, s26
	s_delay_alu instid0(VALU_DEP_1) | instskip(NEXT) | instid1(VALU_DEP_1)
	v_add_nc_u16 v26, v26, 1
	v_cndmask_b32_e64 v10, v10, v26, s12
	v_cmp_eq_u32_e64 s12, 0, v25
	v_dual_cndmask_b32 v2, v2, v26, s26 :: v_dual_cndmask_b32 v16, v16, v26, s25
	v_dual_cndmask_b32 v1, v1, v26, s24 :: v_dual_cndmask_b32 v15, v15, v26, s23
	v_dual_cndmask_b32 v3, v3, v26, s22 :: v_dual_cndmask_b32 v13, v13, v26, s21
	v_dual_cndmask_b32 v11, v11, v26, s20 :: v_dual_cndmask_b32 v14, v14, v26, s19
	v_dual_cndmask_b32 v8, v8, v26, s18 :: v_dual_cndmask_b32 v9, v9, v26, s17
	v_dual_cndmask_b32 v5, v5, v26, s16 :: v_dual_cndmask_b32 v6, v6, v26, s15
	v_dual_cndmask_b32 v4, v4, v26, s14 :: v_dual_cndmask_b32 v7, v7, v26, s13
	v_cndmask_b32_e64 v12, v12, v26, s12
.LBB0_34:
	s_or_b32 exec_lo, exec_lo, s33
	s_and_b32 s12, s5, s27
	s_delay_alu instid0(SALU_CYCLE_1) | instskip(NEXT) | instid1(SALU_CYCLE_1)
	s_and_b32 s12, s2, s12
	s_and_saveexec_b32 s33, s12
	s_cbranch_execz .LBB0_36
; %bb.35:
	v_add_nc_u32_e32 v25, v0, v24
	v_add_nc_u16 v17, v17, 1
	global_load_i8 v25, v25, s[28:29]
	s_wait_loadcnt 0x0
	v_cmp_eq_u32_e64 s12, 1, v25
	v_cmp_eq_u32_e64 s13, 2, v25
	v_cmp_eq_u32_e64 s14, 3, v25
	v_cmp_eq_u32_e64 s15, 4, v25
	v_cmp_eq_u32_e64 s16, 5, v25
	v_cndmask_b32_e64 v26, v12, v10, s12
	v_cmp_eq_u32_e64 s17, 6, v25
	v_cmp_eq_u32_e64 s18, 7, v25
	v_cmp_eq_u32_e64 s19, 8, v25
	v_cmp_eq_u32_e64 s20, 9, v25
	v_cndmask_b32_e64 v26, v26, v7, s13
	v_cmp_eq_u32_e64 s21, 10, v25
	v_cmp_eq_u32_e64 s22, 11, v25
	v_cmp_eq_u32_e64 s23, 12, v25
	v_cmp_eq_u32_e64 s24, 13, v25
	v_cndmask_b32_e64 v26, v26, v4, s14
	v_cmp_eq_u32_e64 s25, 14, v25
	v_cmp_eq_u32_e64 s26, 15, v25
	s_delay_alu instid0(VALU_DEP_3) | instskip(NEXT) | instid1(VALU_DEP_1)
	v_cndmask_b32_e64 v26, v26, v6, s15
	v_cndmask_b32_e64 v26, v26, v5, s16
	s_delay_alu instid0(VALU_DEP_1) | instskip(NEXT) | instid1(VALU_DEP_1)
	v_cndmask_b32_e64 v26, v26, v9, s17
	v_cndmask_b32_e64 v26, v26, v8, s18
	s_delay_alu instid0(VALU_DEP_1) | instskip(NEXT) | instid1(VALU_DEP_1)
	v_cndmask_b32_e64 v26, v26, v14, s19
	v_cndmask_b32_e64 v26, v26, v11, s20
	s_delay_alu instid0(VALU_DEP_1) | instskip(NEXT) | instid1(VALU_DEP_1)
	v_cndmask_b32_e64 v26, v26, v13, s21
	v_cndmask_b32_e64 v26, v26, v3, s22
	s_delay_alu instid0(VALU_DEP_1) | instskip(NEXT) | instid1(VALU_DEP_1)
	v_cndmask_b32_e64 v26, v26, v15, s23
	v_cndmask_b32_e64 v26, v26, v1, s24
	s_delay_alu instid0(VALU_DEP_1) | instskip(NEXT) | instid1(VALU_DEP_1)
	v_cndmask_b32_e64 v26, v26, v16, s25
	v_cndmask_b32_e64 v26, v26, v2, s26
	s_delay_alu instid0(VALU_DEP_1) | instskip(NEXT) | instid1(VALU_DEP_1)
	v_add_nc_u16 v26, v26, 1
	v_cndmask_b32_e64 v10, v10, v26, s12
	v_cmp_eq_u32_e64 s12, 0, v25
	v_dual_cndmask_b32 v2, v2, v26, s26 :: v_dual_cndmask_b32 v16, v16, v26, s25
	v_dual_cndmask_b32 v1, v1, v26, s24 :: v_dual_cndmask_b32 v15, v15, v26, s23
	v_dual_cndmask_b32 v3, v3, v26, s22 :: v_dual_cndmask_b32 v13, v13, v26, s21
	v_dual_cndmask_b32 v11, v11, v26, s20 :: v_dual_cndmask_b32 v14, v14, v26, s19
	v_dual_cndmask_b32 v8, v8, v26, s18 :: v_dual_cndmask_b32 v9, v9, v26, s17
	v_dual_cndmask_b32 v5, v5, v26, s16 :: v_dual_cndmask_b32 v6, v6, v26, s15
	v_dual_cndmask_b32 v4, v4, v26, s14 :: v_dual_cndmask_b32 v7, v7, v26, s13
	v_cndmask_b32_e64 v12, v12, v26, s12
.LBB0_36:
	s_or_b32 exec_lo, exec_lo, s33
	s_and_b32 s12, s6, s27
	s_delay_alu instid0(SALU_CYCLE_1) | instskip(NEXT) | instid1(SALU_CYCLE_1)
	s_and_b32 s12, s7, s12
	s_and_saveexec_b32 s33, s12
	s_cbranch_execz .LBB0_38
; %bb.37:
	v_add_nc_u32_e32 v25, v20, v24
	v_add_nc_u16 v17, v17, 1
	global_load_i8 v25, v25, s[28:29]
	s_wait_loadcnt 0x0
	v_cmp_eq_u32_e64 s12, 1, v25
	v_cmp_eq_u32_e64 s13, 2, v25
	v_cmp_eq_u32_e64 s14, 3, v25
	v_cmp_eq_u32_e64 s15, 4, v25
	v_cmp_eq_u32_e64 s16, 5, v25
	v_cndmask_b32_e64 v26, v12, v10, s12
	v_cmp_eq_u32_e64 s17, 6, v25
	v_cmp_eq_u32_e64 s18, 7, v25
	v_cmp_eq_u32_e64 s19, 8, v25
	v_cmp_eq_u32_e64 s20, 9, v25
	v_cndmask_b32_e64 v26, v26, v7, s13
	v_cmp_eq_u32_e64 s21, 10, v25
	v_cmp_eq_u32_e64 s22, 11, v25
	v_cmp_eq_u32_e64 s23, 12, v25
	v_cmp_eq_u32_e64 s24, 13, v25
	v_cndmask_b32_e64 v26, v26, v4, s14
	v_cmp_eq_u32_e64 s25, 14, v25
	v_cmp_eq_u32_e64 s26, 15, v25
	s_delay_alu instid0(VALU_DEP_3) | instskip(NEXT) | instid1(VALU_DEP_1)
	v_cndmask_b32_e64 v26, v26, v6, s15
	v_cndmask_b32_e64 v26, v26, v5, s16
	s_delay_alu instid0(VALU_DEP_1) | instskip(NEXT) | instid1(VALU_DEP_1)
	v_cndmask_b32_e64 v26, v26, v9, s17
	v_cndmask_b32_e64 v26, v26, v8, s18
	s_delay_alu instid0(VALU_DEP_1) | instskip(NEXT) | instid1(VALU_DEP_1)
	v_cndmask_b32_e64 v26, v26, v14, s19
	v_cndmask_b32_e64 v26, v26, v11, s20
	s_delay_alu instid0(VALU_DEP_1) | instskip(NEXT) | instid1(VALU_DEP_1)
	v_cndmask_b32_e64 v26, v26, v13, s21
	v_cndmask_b32_e64 v26, v26, v3, s22
	s_delay_alu instid0(VALU_DEP_1) | instskip(NEXT) | instid1(VALU_DEP_1)
	v_cndmask_b32_e64 v26, v26, v15, s23
	v_cndmask_b32_e64 v26, v26, v1, s24
	s_delay_alu instid0(VALU_DEP_1) | instskip(NEXT) | instid1(VALU_DEP_1)
	v_cndmask_b32_e64 v26, v26, v16, s25
	v_cndmask_b32_e64 v26, v26, v2, s26
	s_delay_alu instid0(VALU_DEP_1) | instskip(NEXT) | instid1(VALU_DEP_1)
	v_add_nc_u16 v26, v26, 1
	v_cndmask_b32_e64 v10, v10, v26, s12
	v_cmp_eq_u32_e64 s12, 0, v25
	v_dual_cndmask_b32 v2, v2, v26, s26 :: v_dual_cndmask_b32 v16, v16, v26, s25
	v_dual_cndmask_b32 v1, v1, v26, s24 :: v_dual_cndmask_b32 v15, v15, v26, s23
	v_dual_cndmask_b32 v3, v3, v26, s22 :: v_dual_cndmask_b32 v13, v13, v26, s21
	v_dual_cndmask_b32 v11, v11, v26, s20 :: v_dual_cndmask_b32 v14, v14, v26, s19
	v_dual_cndmask_b32 v8, v8, v26, s18 :: v_dual_cndmask_b32 v9, v9, v26, s17
	v_dual_cndmask_b32 v5, v5, v26, s16 :: v_dual_cndmask_b32 v6, v6, v26, s15
	v_dual_cndmask_b32 v4, v4, v26, s14 :: v_dual_cndmask_b32 v7, v7, v26, s13
	v_cndmask_b32_e64 v12, v12, v26, s12
.LBB0_38:
	s_or_b32 exec_lo, exec_lo, s33
	s_and_b32 s12, s8, s27
	s_delay_alu instid0(SALU_CYCLE_1) | instskip(NEXT) | instid1(SALU_CYCLE_1)
	s_and_b32 s12, s9, s12
	s_and_saveexec_b32 s27, s12
	s_cbranch_execz .LBB0_40
; %bb.39:
	v_add_nc_u32_e32 v25, v21, v24
	v_add_nc_u16 v17, v17, 1
	global_load_i8 v25, v25, s[28:29]
	s_wait_loadcnt 0x0
	v_cmp_eq_u32_e64 s12, 1, v25
	v_cmp_eq_u32_e64 s13, 2, v25
	;; [unrolled: 1-line block ×5, first 2 shown]
	v_cndmask_b32_e64 v26, v12, v10, s12
	v_cmp_eq_u32_e64 s17, 6, v25
	v_cmp_eq_u32_e64 s18, 7, v25
	;; [unrolled: 1-line block ×4, first 2 shown]
	v_cndmask_b32_e64 v26, v26, v7, s13
	v_cmp_eq_u32_e64 s21, 10, v25
	v_cmp_eq_u32_e64 s22, 11, v25
	;; [unrolled: 1-line block ×4, first 2 shown]
	v_cndmask_b32_e64 v26, v26, v4, s14
	v_cmp_eq_u32_e64 s25, 14, v25
	v_cmp_eq_u32_e64 s26, 15, v25
	s_delay_alu instid0(VALU_DEP_3) | instskip(NEXT) | instid1(VALU_DEP_1)
	v_cndmask_b32_e64 v26, v26, v6, s15
	v_cndmask_b32_e64 v26, v26, v5, s16
	s_delay_alu instid0(VALU_DEP_1) | instskip(NEXT) | instid1(VALU_DEP_1)
	v_cndmask_b32_e64 v26, v26, v9, s17
	v_cndmask_b32_e64 v26, v26, v8, s18
	s_delay_alu instid0(VALU_DEP_1) | instskip(NEXT) | instid1(VALU_DEP_1)
	;; [unrolled: 3-line block ×6, first 2 shown]
	v_add_nc_u16 v26, v26, 1
	v_cndmask_b32_e64 v10, v10, v26, s12
	v_cmp_eq_u32_e64 s12, 0, v25
	v_dual_cndmask_b32 v2, v2, v26, s26 :: v_dual_cndmask_b32 v16, v16, v26, s25
	v_dual_cndmask_b32 v1, v1, v26, s24 :: v_dual_cndmask_b32 v15, v15, v26, s23
	;; [unrolled: 1-line block ×7, first 2 shown]
	v_cndmask_b32_e64 v12, v12, v26, s12
.LBB0_40:
	s_or_b32 exec_lo, exec_lo, s27
	v_add_nc_u32_e32 v25, 2, v23
	v_cmp_lt_i32_e64 s12, -3, v23
	v_add_nc_u32_e32 v23, s31, v24
	s_delay_alu instid0(VALU_DEP_3) | instskip(SKIP_1) | instid1(SALU_CYCLE_1)
	v_cmp_gt_i32_e64 s13, s30, v25
	s_and_b32 s25, s12, s13
	s_and_b32 s10, s10, s25
	s_delay_alu instid0(SALU_CYCLE_1) | instskip(NEXT) | instid1(SALU_CYCLE_1)
	s_and_b32 s10, s11, s10
	s_and_saveexec_b32 s26, s10
	s_cbranch_execz .LBB0_42
; %bb.41:
	v_add_nc_u32_e32 v22, v22, v23
	v_add_nc_u16 v17, v17, 1
	global_load_i8 v22, v22, s[28:29]
	s_wait_loadcnt 0x0
	v_cmp_eq_u32_e64 s10, 1, v22
	v_cmp_eq_u32_e64 s11, 2, v22
	;; [unrolled: 1-line block ×5, first 2 shown]
	v_cndmask_b32_e64 v24, v12, v10, s10
	v_cmp_eq_u32_e64 s15, 6, v22
	v_cmp_eq_u32_e64 s16, 7, v22
	;; [unrolled: 1-line block ×4, first 2 shown]
	v_cndmask_b32_e64 v24, v24, v7, s11
	v_cmp_eq_u32_e64 s19, 10, v22
	v_cmp_eq_u32_e64 s20, 11, v22
	;; [unrolled: 1-line block ×4, first 2 shown]
	v_cndmask_b32_e64 v24, v24, v4, s12
	v_cmp_eq_u32_e64 s23, 14, v22
	v_cmp_eq_u32_e64 s24, 15, v22
	s_delay_alu instid0(VALU_DEP_3) | instskip(NEXT) | instid1(VALU_DEP_1)
	v_cndmask_b32_e64 v24, v24, v6, s13
	v_cndmask_b32_e64 v24, v24, v5, s14
	s_delay_alu instid0(VALU_DEP_1) | instskip(NEXT) | instid1(VALU_DEP_1)
	v_cndmask_b32_e64 v24, v24, v9, s15
	v_cndmask_b32_e64 v24, v24, v8, s16
	s_delay_alu instid0(VALU_DEP_1) | instskip(NEXT) | instid1(VALU_DEP_1)
	;; [unrolled: 3-line block ×6, first 2 shown]
	v_add_nc_u16 v24, v24, 1
	v_cndmask_b32_e64 v10, v10, v24, s10
	v_cmp_eq_u32_e64 s10, 0, v22
	v_dual_cndmask_b32 v2, v2, v24, s24 :: v_dual_cndmask_b32 v16, v16, v24, s23
	v_dual_cndmask_b32 v1, v1, v24, s22 :: v_dual_cndmask_b32 v15, v15, v24, s21
	;; [unrolled: 1-line block ×7, first 2 shown]
	v_cndmask_b32_e64 v12, v12, v24, s10
.LBB0_42:
	s_or_b32 exec_lo, exec_lo, s26
	s_and_b32 s10, vcc_lo, s25
	s_delay_alu instid0(SALU_CYCLE_1) | instskip(NEXT) | instid1(SALU_CYCLE_1)
	s_and_b32 s4, s4, s10
	s_and_saveexec_b32 s23, s4
	s_cbranch_execz .LBB0_44
; %bb.43:
	v_add_nc_u32_e32 v19, v19, v23
	v_add_nc_u16 v17, v17, 1
	global_load_i8 v19, v19, s[28:29]
	s_wait_loadcnt 0x0
	v_cmp_eq_u32_e32 vcc_lo, 1, v19
	v_cmp_eq_u32_e64 s4, 2, v19
	v_cmp_eq_u32_e64 s10, 3, v19
	v_cmp_eq_u32_e64 s11, 4, v19
	v_cmp_eq_u32_e64 s12, 5, v19
	v_cndmask_b32_e32 v22, v12, v10, vcc_lo
	v_cmp_eq_u32_e64 s13, 6, v19
	v_cmp_eq_u32_e64 s14, 7, v19
	v_cmp_eq_u32_e64 s15, 8, v19
	v_cmp_eq_u32_e64 s16, 9, v19
	v_cndmask_b32_e64 v22, v22, v7, s4
	v_cmp_eq_u32_e64 s17, 10, v19
	v_cmp_eq_u32_e64 s18, 11, v19
	v_cmp_eq_u32_e64 s19, 12, v19
	v_cmp_eq_u32_e64 s20, 13, v19
	v_cndmask_b32_e64 v22, v22, v4, s10
	v_cmp_eq_u32_e64 s21, 14, v19
	v_cmp_eq_u32_e64 s22, 15, v19
	s_delay_alu instid0(VALU_DEP_3) | instskip(NEXT) | instid1(VALU_DEP_1)
	v_cndmask_b32_e64 v22, v22, v6, s11
	v_cndmask_b32_e64 v22, v22, v5, s12
	s_delay_alu instid0(VALU_DEP_1) | instskip(NEXT) | instid1(VALU_DEP_1)
	v_cndmask_b32_e64 v22, v22, v9, s13
	v_cndmask_b32_e64 v22, v22, v8, s14
	s_delay_alu instid0(VALU_DEP_1) | instskip(NEXT) | instid1(VALU_DEP_1)
	v_cndmask_b32_e64 v22, v22, v14, s15
	v_cndmask_b32_e64 v22, v22, v11, s16
	s_delay_alu instid0(VALU_DEP_1) | instskip(NEXT) | instid1(VALU_DEP_1)
	v_cndmask_b32_e64 v22, v22, v13, s17
	v_cndmask_b32_e64 v22, v22, v3, s18
	s_delay_alu instid0(VALU_DEP_1) | instskip(NEXT) | instid1(VALU_DEP_1)
	v_cndmask_b32_e64 v22, v22, v15, s19
	v_cndmask_b32_e64 v22, v22, v1, s20
	s_delay_alu instid0(VALU_DEP_1) | instskip(NEXT) | instid1(VALU_DEP_1)
	v_cndmask_b32_e64 v22, v22, v16, s21
	v_cndmask_b32_e64 v22, v22, v2, s22
	s_delay_alu instid0(VALU_DEP_1) | instskip(NEXT) | instid1(VALU_DEP_1)
	v_add_nc_u16 v22, v22, 1
	v_cndmask_b32_e32 v10, v10, v22, vcc_lo
	v_cmp_eq_u32_e32 vcc_lo, 0, v19
	v_dual_cndmask_b32 v2, v2, v22, s22 :: v_dual_cndmask_b32 v16, v16, v22, s21
	v_dual_cndmask_b32 v1, v1, v22, s20 :: v_dual_cndmask_b32 v15, v15, v22, s19
	v_dual_cndmask_b32 v3, v3, v22, s18 :: v_dual_cndmask_b32 v13, v13, v22, s17
	v_dual_cndmask_b32 v11, v11, v22, s16 :: v_dual_cndmask_b32 v14, v14, v22, s15
	v_dual_cndmask_b32 v8, v8, v22, s14 :: v_dual_cndmask_b32 v9, v9, v22, s13
	v_dual_cndmask_b32 v5, v5, v22, s12 :: v_dual_cndmask_b32 v6, v6, v22, s11
	v_dual_cndmask_b32 v4, v4, v22, s10 :: v_dual_cndmask_b32 v7, v7, v22, s4
	v_cndmask_b32_e32 v12, v12, v22, vcc_lo
.LBB0_44:
	s_or_b32 exec_lo, exec_lo, s23
	s_and_b32 s4, s5, s25
	s_delay_alu instid0(SALU_CYCLE_1) | instskip(NEXT) | instid1(SALU_CYCLE_1)
	s_and_b32 s4, s2, s4
	s_and_saveexec_b32 s22, s4
	s_cbranch_execz .LBB0_46
; %bb.45:
	v_add_nc_u32_e32 v19, v0, v23
	v_add_nc_u16 v17, v17, 1
	global_load_i8 v19, v19, s[28:29]
	s_wait_loadcnt 0x0
	v_cmp_eq_u32_e32 vcc_lo, 1, v19
	v_cmp_eq_u32_e64 s4, 2, v19
	v_cmp_eq_u32_e64 s5, 3, v19
	v_cmp_eq_u32_e64 s10, 4, v19
	v_cmp_eq_u32_e64 s11, 5, v19
	v_cndmask_b32_e32 v22, v12, v10, vcc_lo
	v_cmp_eq_u32_e64 s12, 6, v19
	v_cmp_eq_u32_e64 s13, 7, v19
	v_cmp_eq_u32_e64 s14, 8, v19
	v_cmp_eq_u32_e64 s15, 9, v19
	v_cndmask_b32_e64 v22, v22, v7, s4
	v_cmp_eq_u32_e64 s16, 10, v19
	v_cmp_eq_u32_e64 s17, 11, v19
	v_cmp_eq_u32_e64 s18, 12, v19
	v_cmp_eq_u32_e64 s19, 13, v19
	v_cndmask_b32_e64 v22, v22, v4, s5
	v_cmp_eq_u32_e64 s20, 14, v19
	v_cmp_eq_u32_e64 s21, 15, v19
	s_delay_alu instid0(VALU_DEP_3) | instskip(NEXT) | instid1(VALU_DEP_1)
	v_cndmask_b32_e64 v22, v22, v6, s10
	v_cndmask_b32_e64 v22, v22, v5, s11
	s_delay_alu instid0(VALU_DEP_1) | instskip(NEXT) | instid1(VALU_DEP_1)
	v_cndmask_b32_e64 v22, v22, v9, s12
	v_cndmask_b32_e64 v22, v22, v8, s13
	s_delay_alu instid0(VALU_DEP_1) | instskip(NEXT) | instid1(VALU_DEP_1)
	v_cndmask_b32_e64 v22, v22, v14, s14
	v_cndmask_b32_e64 v22, v22, v11, s15
	s_delay_alu instid0(VALU_DEP_1) | instskip(NEXT) | instid1(VALU_DEP_1)
	v_cndmask_b32_e64 v22, v22, v13, s16
	v_cndmask_b32_e64 v22, v22, v3, s17
	s_delay_alu instid0(VALU_DEP_1) | instskip(NEXT) | instid1(VALU_DEP_1)
	v_cndmask_b32_e64 v22, v22, v15, s18
	v_cndmask_b32_e64 v22, v22, v1, s19
	s_delay_alu instid0(VALU_DEP_1) | instskip(NEXT) | instid1(VALU_DEP_1)
	v_cndmask_b32_e64 v22, v22, v16, s20
	v_cndmask_b32_e64 v22, v22, v2, s21
	s_delay_alu instid0(VALU_DEP_1) | instskip(NEXT) | instid1(VALU_DEP_1)
	v_add_nc_u16 v22, v22, 1
	v_cndmask_b32_e32 v10, v10, v22, vcc_lo
	v_cmp_eq_u32_e32 vcc_lo, 0, v19
	v_dual_cndmask_b32 v2, v2, v22, s21 :: v_dual_cndmask_b32 v16, v16, v22, s20
	v_dual_cndmask_b32 v1, v1, v22, s19 :: v_dual_cndmask_b32 v15, v15, v22, s18
	v_dual_cndmask_b32 v3, v3, v22, s17 :: v_dual_cndmask_b32 v13, v13, v22, s16
	v_dual_cndmask_b32 v11, v11, v22, s15 :: v_dual_cndmask_b32 v14, v14, v22, s14
	v_dual_cndmask_b32 v8, v8, v22, s13 :: v_dual_cndmask_b32 v9, v9, v22, s12
	v_dual_cndmask_b32 v5, v5, v22, s11 :: v_dual_cndmask_b32 v6, v6, v22, s10
	v_dual_cndmask_b32 v4, v4, v22, s5 :: v_dual_cndmask_b32 v7, v7, v22, s4
	v_cndmask_b32_e32 v12, v12, v22, vcc_lo
.LBB0_46:
	s_or_b32 exec_lo, exec_lo, s22
	s_and_b32 s4, s6, s25
	;; [unrolled: 60-line block ×3, first 2 shown]
	s_delay_alu instid0(SALU_CYCLE_1) | instskip(NEXT) | instid1(SALU_CYCLE_1)
	s_and_b32 s4, s9, s4
	s_and_saveexec_b32 s18, s4
	s_cbranch_execz .LBB0_50
; %bb.49:
	v_add_nc_u32_e32 v19, v21, v23
	v_add_nc_u16 v17, v17, 1
	global_load_i8 v19, v19, s[28:29]
	s_wait_loadcnt 0x0
	v_cmp_eq_u32_e32 vcc_lo, 1, v19
	v_cmp_eq_u32_e64 s4, 2, v19
	v_cmp_eq_u32_e64 s5, 3, v19
	;; [unrolled: 1-line block ×4, first 2 shown]
	v_cndmask_b32_e32 v20, v12, v10, vcc_lo
	v_cmp_eq_u32_e64 s8, 6, v19
	v_cmp_eq_u32_e64 s9, 7, v19
	;; [unrolled: 1-line block ×4, first 2 shown]
	v_cndmask_b32_e64 v20, v20, v7, s4
	v_cmp_eq_u32_e64 s12, 10, v19
	v_cmp_eq_u32_e64 s13, 11, v19
	;; [unrolled: 1-line block ×4, first 2 shown]
	v_cndmask_b32_e64 v20, v20, v4, s5
	v_cmp_eq_u32_e64 s16, 14, v19
	v_cmp_eq_u32_e64 s17, 15, v19
	s_delay_alu instid0(VALU_DEP_3) | instskip(NEXT) | instid1(VALU_DEP_1)
	v_cndmask_b32_e64 v20, v20, v6, s6
	v_cndmask_b32_e64 v20, v20, v5, s7
	s_delay_alu instid0(VALU_DEP_1) | instskip(NEXT) | instid1(VALU_DEP_1)
	v_cndmask_b32_e64 v20, v20, v9, s8
	v_cndmask_b32_e64 v20, v20, v8, s9
	s_delay_alu instid0(VALU_DEP_1) | instskip(NEXT) | instid1(VALU_DEP_1)
	;; [unrolled: 3-line block ×6, first 2 shown]
	v_add_nc_u16 v20, v20, 1
	v_cndmask_b32_e32 v10, v10, v20, vcc_lo
	v_cmp_eq_u32_e32 vcc_lo, 0, v19
	v_dual_cndmask_b32 v2, v2, v20, s17 :: v_dual_cndmask_b32 v16, v16, v20, s16
	v_dual_cndmask_b32 v1, v1, v20, s15 :: v_dual_cndmask_b32 v15, v15, v20, s14
	;; [unrolled: 1-line block ×7, first 2 shown]
	v_cndmask_b32_e32 v12, v12, v20, vcc_lo
.LBB0_50:
	s_or_b32 exec_lo, exec_lo, s18
	v_and_b32_e32 v19, 0xff, v17
	s_delay_alu instid0(VALU_DEP_1)
	v_cmp_ne_u16_e32 vcc_lo, 0, v19
	v_mov_b32_e32 v19, 0
	s_and_saveexec_b32 s8, vcc_lo
	s_cbranch_execnz .LBB0_53
; %bb.51:
	s_or_b32 exec_lo, exec_lo, s8
	s_and_b32 s2, s2, s3
	s_delay_alu instid0(SALU_CYCLE_1)
	s_and_saveexec_b32 s3, s2
	s_cbranch_execnz .LBB0_54
.LBB0_52:
	s_endpgm
.LBB0_53:
	v_bfe_i32 v19, v12, 0, 8
	v_cvt_f32_ubyte0_e32 v12, v17
	v_bfe_i32 v7, v7, 0, 8
	v_bfe_i32 v4, v4, 0, 8
	;; [unrolled: 1-line block ×8, first 2 shown]
	v_cvt_f32_i32_e32 v14, v17
	v_bfe_i32 v17, v19, 0, 16
	v_bfe_i32 v4, v4, 0, 16
	;; [unrolled: 1-line block ×3, first 2 shown]
	v_cvt_f32_i32_e32 v7, v7
	v_div_scale_f32 v19, null, v12, v12, v14
	v_cvt_f32_i32_e32 v17, v17
	v_div_scale_f32 v24, vcc_lo, v14, v12, v14
	s_delay_alu instid0(VALU_DEP_3) | instskip(SKIP_1) | instid1(VALU_DEP_3)
	v_rcp_f32_e32 v20, v19
	v_div_scale_f32 v25, null, v12, v12, v7
	v_div_scale_f32 v21, null, v12, v12, v17
	v_div_scale_f32 v28, s4, v17, v12, v17
	s_delay_alu instid0(TRANS32_DEP_1) | instskip(NEXT) | instid1(VALU_DEP_3)
	v_fma_f32 v23, -v19, v20, 1.0
	v_rcp_f32_e32 v22, v21
	v_rcp_f32_e32 v26, v25
	v_div_scale_f32 v31, s5, v7, v12, v7
	s_delay_alu instid0(VALU_DEP_2) | instskip(SKIP_2) | instid1(TRANS32_DEP_2)
	v_fmac_f32_e32 v20, v23, v20
	v_cvt_f32_i32_e32 v4, v4
	v_cvt_f32_i32_e32 v6, v6
	v_fma_f32 v23, -v21, v22, 1.0
	s_delay_alu instid0(TRANS32_DEP_1)
	v_fma_f32 v29, -v25, v26, 1.0
	v_bfe_i32 v5, v5, 0, 8
	v_bfe_i32 v9, v9, 0, 8
	v_bfe_i32 v8, v8, 0, 8
	v_dual_fmac_f32 v22, v23, v22 :: v_dual_mul_f32 v27, v24, v20
	v_fmac_f32_e32 v26, v29, v26
	v_bfe_i32 v5, v5, 0, 16
	v_bfe_i32 v9, v9, 0, 16
	s_delay_alu instid0(VALU_DEP_4) | instskip(SKIP_1) | instid1(VALU_DEP_4)
	v_dual_mul_f32 v30, v28, v22 :: v_dual_fma_f32 v23, -v19, v27, v24
	v_bfe_i32 v8, v8, 0, 16
	v_cvt_f32_i32_e32 v5, v5
	s_delay_alu instid0(VALU_DEP_4) | instskip(SKIP_4) | instid1(VALU_DEP_4)
	v_cvt_f32_i32_e32 v9, v9
	v_bfe_i32 v13, v13, 0, 16
	v_dual_fmac_f32 v27, v23, v20 :: v_dual_fma_f32 v23, -v21, v30, v28
	v_cvt_f32_i32_e32 v8, v8
	v_bfe_i32 v11, v11, 0, 8
	v_cvt_f32_i32_e32 v13, v13
	s_delay_alu instid0(VALU_DEP_4)
	v_fma_f32 v19, -v19, v27, v24
	v_mul_f32_e32 v24, v31, v26
	v_bfe_i32 v10, v10, 0, 16
	v_bfe_i32 v11, v11, 0, 16
	;; [unrolled: 1-line block ×3, first 2 shown]
	v_div_fmas_f32 v19, v19, v20, v27
	v_fma_f32 v20, -v25, v24, v31
	s_mov_b32 vcc_lo, s4
	v_cvt_f32_i32_e32 v11, v11
	v_bfe_i32 v3, v3, 0, 16
	v_div_fixup_f32 v14, v19, v12, v14
	v_fmac_f32_e32 v24, v20, v26
	v_fmac_f32_e32 v30, v23, v22
	v_div_scale_f32 v23, null, v12, v12, v4
	s_delay_alu instid0(VALU_DEP_4) | instskip(NEXT) | instid1(VALU_DEP_4)
	v_cmp_gt_f32_e64 s4, 0x800000, v14
	v_fma_f32 v25, -v25, v24, v31
	s_delay_alu instid0(VALU_DEP_4) | instskip(SKIP_1) | instid1(VALU_DEP_4)
	v_fma_f32 v21, -v21, v30, v28
	v_div_scale_f32 v28, null, v12, v12, v5
	v_cndmask_b32_e64 v20, 0, 32, s4
	v_cvt_f32_i32_e32 v3, v3
	s_delay_alu instid0(VALU_DEP_4)
	v_div_fmas_f32 v19, v21, v22, v30
	s_mov_b32 vcc_lo, s5
	v_rcp_f32_e32 v22, v23
	v_ldexp_f32 v20, v14, v20
	v_div_scale_f32 v21, s6, v4, v12, v4
	v_div_fixup_f32 v17, v19, v12, v17
	v_div_fmas_f32 v19, v25, v26, v24
	v_div_scale_f32 v26, null, v12, v12, v6
	v_log_f32_e32 v20, v20
	s_delay_alu instid0(VALU_DEP_3)
	v_cmp_gt_f32_e32 vcc_lo, 0x800000, v17
	v_cndmask_b32_e64 v25, 0, 0x42000000, s4
	v_div_fixup_f32 v7, v19, v12, v7
	v_rcp_f32_e32 v19, v26
	v_fma_f32 v27, -v23, v22, 1.0
	v_cndmask_b32_e64 v24, 0, 32, vcc_lo
	v_sub_f32_e32 v20, v20, v25
	v_cmp_gt_f32_e64 s4, 0x800000, v7
	v_cndmask_b32_e64 v29, 0, 0x42000000, vcc_lo
	v_div_scale_f32 v31, s5, v6, v12, v6
	v_ldexp_f32 v24, v17, v24
	v_fma_f32 v14, -v14, v20, 0
	v_cndmask_b32_e64 v20, 0, 32, s4
	s_mov_b32 vcc_lo, s6
	v_bfe_i32 v15, v15, 0, 8
	v_log_f32_e32 v24, v24
	v_fmac_f32_e32 v22, v27, v22
	v_fma_f32 v27, -v26, v19, 1.0
	v_ldexp_f32 v20, v7, v20
	v_bfe_i32 v15, v15, 0, 16
	v_bfe_i32 v1, v1, 0, 8
	;; [unrolled: 1-line block ×3, first 2 shown]
	v_dual_fmac_f32 v19, v27, v19 :: v_dual_sub_f32 v24, v24, v29
	v_mul_f32_e32 v25, v21, v22
	v_rcp_f32_e32 v27, v28
	v_log_f32_e32 v20, v20
	v_cndmask_b32_e64 v29, 0, 0x42000000, s4
	s_delay_alu instid0(VALU_DEP_2) | instskip(SKIP_2) | instid1(TRANS32_DEP_2)
	v_dual_fma_f32 v14, -v17, v24, v14 :: v_dual_fma_f32 v30, -v23, v25, v21
	v_cvt_f32_i32_e32 v15, v15
	v_bfe_i32 v1, v1, 0, 16
	v_fma_f32 v32, -v28, v27, 1.0
	s_delay_alu instid0(VALU_DEP_4) | instskip(SKIP_1) | instid1(VALU_DEP_3)
	v_dual_fmac_f32 v25, v30, v22 :: v_dual_mul_f32 v30, v31, v19
	v_sub_f32_e32 v17, v20, v29
	v_fmac_f32_e32 v27, v32, v27
	v_cvt_f32_i32_e32 v1, v1
	s_delay_alu instid0(VALU_DEP_4) | instskip(SKIP_1) | instid1(VALU_DEP_2)
	v_dual_fma_f32 v20, -v23, v25, v21 :: v_dual_fma_f32 v21, -v26, v30, v31
	v_div_scale_f32 v23, s4, v5, v12, v5
	v_div_fmas_f32 v20, v20, v22, v25
	s_delay_alu instid0(VALU_DEP_3) | instskip(NEXT) | instid1(VALU_DEP_3)
	v_fmac_f32_e32 v30, v21, v19
	v_mul_f32_e32 v21, v23, v27
	v_fma_f32 v14, -v7, v17, v14
	s_mov_b32 vcc_lo, s5
	v_div_fixup_f32 v17, v20, v12, v4
	v_div_scale_f32 v25, s6, v9, v12, v9
	v_fma_f32 v7, -v28, v21, v23
	v_fma_f32 v4, -v26, v30, v31
	s_delay_alu instid0(VALU_DEP_4) | instskip(SKIP_1) | instid1(VALU_DEP_4)
	v_cmp_gt_f32_e64 s5, 0x800000, v17
	v_div_scale_f32 v22, null, v12, v12, v8
	v_fmac_f32_e32 v21, v7, v27
	s_delay_alu instid0(VALU_DEP_4) | instskip(SKIP_3) | instid1(VALU_DEP_3)
	v_div_fmas_f32 v4, v4, v19, v30
	s_mov_b32 vcc_lo, s4
	v_div_scale_f32 v19, null, v12, v12, v9
	v_cndmask_b32_e64 v7, 0, 32, s5
	v_div_fixup_f32 v4, v4, v12, v6
	v_fma_f32 v6, -v28, v21, v23
	s_delay_alu instid0(VALU_DEP_4) | instskip(SKIP_2) | instid1(VALU_DEP_2)
	v_rcp_f32_e32 v20, v19
	v_rcp_f32_e32 v24, v22
	v_ldexp_f32 v7, v17, v7
	v_div_fmas_f32 v6, v6, v27, v21
	v_cmp_gt_f32_e32 vcc_lo, 0x800000, v4
	s_delay_alu instid0(TRANS32_DEP_1) | instskip(NEXT) | instid1(VALU_DEP_3)
	v_fma_f32 v27, -v22, v24, 1.0
	v_div_fixup_f32 v5, v6, v12, v5
	v_fma_f32 v6, -v19, v20, 1.0
	v_cndmask_b32_e64 v21, 0, 32, vcc_lo
	v_cndmask_b32_e64 v28, 0, 0x42000000, vcc_lo
	s_mov_b32 vcc_lo, s6
	v_cmp_gt_f32_e64 s4, 0x800000, v5
	v_fmac_f32_e32 v20, v6, v20
	v_ldexp_f32 v21, v4, v21
	v_log_f32_e32 v6, v7
	v_nop
	v_cndmask_b32_e64 v7, 0, 0x42000000, s5
	v_cndmask_b32_e64 v23, 0, 32, s4
	v_mul_f32_e32 v26, v25, v20
	v_log_f32_e32 v21, v21
	v_cndmask_b32_e64 v29, 0, 0x42000000, s4
	v_dual_fmac_f32 v24, v27, v24 :: v_dual_sub_f32 v31, v6, v7
	v_ldexp_f32 v23, v5, v23
	v_fma_f32 v30, -v19, v26, v25
	v_div_scale_f32 v27, s4, v8, v12, v8
	s_delay_alu instid0(VALU_DEP_4) | instskip(NEXT) | instid1(VALU_DEP_4)
	v_fma_f32 v14, -v17, v31, v14
	v_log_f32_e32 v23, v23
	v_sub_f32_e32 v6, v21, v28
	v_fmac_f32_e32 v26, v30, v20
	v_mul_f32_e32 v21, v27, v24
	v_div_scale_f32 v17, null, v12, v12, v13
	s_delay_alu instid0(TRANS32_DEP_1) | instskip(NEXT) | instid1(VALU_DEP_1)
	v_sub_f32_e32 v7, v23, v29
	v_pk_mul_f32 v[4:5], v[4:5], v[6:7]
	s_delay_alu instid0(VALU_DEP_4) | instskip(NEXT) | instid1(VALU_DEP_4)
	v_dual_fma_f32 v6, -v19, v26, v25 :: v_dual_fma_f32 v7, -v22, v21, v27
	v_rcp_f32_e32 v19, v17
	s_delay_alu instid0(VALU_DEP_2) | instskip(NEXT) | instid1(VALU_DEP_2)
	v_sub_f32_e32 v4, v14, v4
	v_div_fmas_f32 v6, v6, v20, v26
	s_mov_b32 vcc_lo, s4
	s_delay_alu instid0(TRANS32_DEP_1) | instskip(SKIP_1) | instid1(VALU_DEP_3)
	v_fma_f32 v14, -v17, v19, 1.0
	v_fmac_f32_e32 v21, v7, v24
	v_div_fixup_f32 v6, v6, v12, v9
	v_div_scale_f32 v9, null, v12, v12, v11
	s_delay_alu instid0(VALU_DEP_4) | instskip(NEXT) | instid1(VALU_DEP_4)
	v_fmac_f32_e32 v19, v14, v19
	v_fma_f32 v7, -v22, v21, v27
	v_div_scale_f32 v14, s4, v13, v12, v13
	s_delay_alu instid0(VALU_DEP_4) | instskip(NEXT) | instid1(VALU_DEP_2)
	v_rcp_f32_e32 v20, v9
	v_div_fmas_f32 v7, v7, v24, v21
	v_cmp_gt_f32_e32 vcc_lo, 0x800000, v6
	s_delay_alu instid0(VALU_DEP_3) | instskip(NEXT) | instid1(VALU_DEP_3)
	v_mul_f32_e32 v22, v14, v19
	v_div_fixup_f32 v7, v7, v12, v8
	v_cndmask_b32_e64 v8, 0, 32, vcc_lo
	s_delay_alu instid0(TRANS32_DEP_1)
	v_fma_f32 v21, -v9, v20, 1.0
	v_cndmask_b32_e64 v25, 0, 0x42000000, vcc_lo
	s_mov_b32 vcc_lo, s4
	v_cmp_gt_f32_e64 s6, 0x800000, v7
	v_ldexp_f32 v8, v6, v8
	v_fmac_f32_e32 v20, v21, v20
	v_div_scale_f32 v21, s5, v11, v12, v11
	s_delay_alu instid0(VALU_DEP_4) | instskip(NEXT) | instid1(VALU_DEP_4)
	v_cndmask_b32_e64 v23, 0, 32, s6
	v_log_f32_e32 v8, v8
	v_fma_f32 v26, -v17, v22, v14
	s_delay_alu instid0(VALU_DEP_3) | instskip(NEXT) | instid1(VALU_DEP_3)
	v_mul_f32_e32 v24, v21, v20
	v_ldexp_f32 v23, v7, v23
	s_delay_alu instid0(TRANS32_DEP_1) | instid1(VALU_DEP_2)
	v_dual_sub_f32 v8, v8, v25 :: v_dual_fma_f32 v27, -v9, v24, v21
	s_delay_alu instid0(VALU_DEP_4) | instskip(SKIP_1) | instid1(VALU_DEP_4)
	v_fmac_f32_e32 v22, v26, v19
	v_cvt_f32_i32_e32 v25, v10
	v_log_f32_e32 v23, v23
	v_cndmask_b32_e64 v26, 0, 0x42000000, s6
	s_delay_alu instid0(VALU_DEP_3) | instskip(NEXT) | instid1(VALU_DEP_3)
	v_dual_fmac_f32 v24, v27, v20 :: v_dual_fma_f32 v10, -v17, v22, v14
	v_div_scale_f32 v14, null, v12, v12, v25
	s_delay_alu instid0(VALU_DEP_2) | instskip(NEXT) | instid1(VALU_DEP_2)
	v_div_fmas_f32 v10, v10, v19, v22
	v_rcp_f32_e32 v17, v14
	s_mov_b32 vcc_lo, s5
	s_delay_alu instid0(VALU_DEP_1) | instskip(NEXT) | instid1(TRANS32_DEP_1)
	v_div_fixup_f32 v10, v10, v12, v13
	v_fma_f32 v13, -v14, v17, 1.0
	s_delay_alu instid0(VALU_DEP_1) | instskip(SKIP_2) | instid1(VALU_DEP_2)
	v_fmac_f32_e32 v17, v13, v17
	v_fma_f32 v9, -v9, v24, v21
	v_div_scale_f32 v13, null, v12, v12, v3
	v_div_fmas_f32 v19, v9, v20, v24
	v_cmp_gt_f32_e32 vcc_lo, 0x800000, v10
	v_div_scale_f32 v20, s4, v25, v12, v25
	v_dual_sub_f32 v9, v23, v26 :: v_dual_sub_f32 v24, v4, v5
	s_delay_alu instid0(VALU_DEP_4) | instskip(SKIP_1) | instid1(VALU_DEP_4)
	v_div_fixup_f32 v11, v19, v12, v11
	v_cndmask_b32_e64 v19, 0, 32, vcc_lo
	v_mul_f32_e32 v23, v20, v17
	v_rcp_f32_e32 v22, v13
	v_pk_mul_f32 v[4:5], v[6:7], v[8:9]
	v_cmp_gt_f32_e64 s5, 0x800000, v11
	v_ldexp_f32 v19, v10, v19
	v_fma_f32 v8, -v14, v23, v20
	s_delay_alu instid0(VALU_DEP_3) | instskip(NEXT) | instid1(VALU_DEP_3)
	v_cndmask_b32_e64 v21, 0, 32, s5
	v_log_f32_e32 v7, v19
	v_fma_f32 v9, -v13, v22, 1.0
	v_cndmask_b32_e64 v19, 0, 0x42000000, vcc_lo
	v_cndmask_b32_e64 v26, 0, 0x42000000, s5
	v_ldexp_f32 v6, v11, v21
	s_delay_alu instid0(VALU_DEP_4) | instskip(SKIP_2) | instid1(VALU_DEP_3)
	v_dual_fmac_f32 v23, v8, v17 :: v_dual_fmac_f32 v22, v9, v22
	v_sub_f32_e32 v4, v24, v4
	s_mov_b32 vcc_lo, s4
	v_log_f32_e32 v21, v6
	v_nop
	v_sub_f32_e32 v6, v7, v19
	v_fma_f32 v9, -v14, v23, v20
	v_div_scale_f32 v8, s5, v3, v12, v3
	s_delay_alu instid0(TRANS32_DEP_1) | instskip(NEXT) | instid1(VALU_DEP_3)
	v_sub_f32_e32 v7, v21, v26
	v_div_fmas_f32 v9, v9, v17, v23
	v_sub_f32_e32 v17, v4, v5
	s_mov_b32 vcc_lo, s5
	v_div_scale_f32 v21, s5, v1, v12, v1
	v_pk_mul_f32 v[4:5], v[10:11], v[6:7]
	v_mul_f32_e32 v14, v8, v22
	v_div_fixup_f32 v6, v9, v12, v25
	v_div_scale_f32 v9, null, v12, v12, v15
	s_delay_alu instid0(VALU_DEP_4) | instskip(NEXT) | instid1(VALU_DEP_4)
	v_sub_f32_e32 v4, v17, v4
	v_fma_f32 v7, -v13, v14, v8
	s_delay_alu instid0(VALU_DEP_4) | instskip(NEXT) | instid1(VALU_DEP_4)
	v_cmp_gt_f32_e64 s4, 0x800000, v6
	v_rcp_f32_e32 v10, v9
	v_bfe_i32 v11, v2, 0, 8
	s_delay_alu instid0(VALU_DEP_3) | instskip(NEXT) | instid1(VALU_DEP_3)
	v_dual_sub_f32 v17, v4, v5 :: v_dual_fmac_f32 v14, v7, v22
	v_cndmask_b32_e64 v7, 0, 32, s4
	s_delay_alu instid0(VALU_DEP_3) | instskip(NEXT) | instid1(TRANS32_DEP_1)
	v_bfe_i32 v11, v11, 0, 16
	v_fma_f32 v5, -v9, v10, 1.0
	s_delay_alu instid0(VALU_DEP_4) | instskip(NEXT) | instid1(VALU_DEP_4)
	v_fma_f32 v2, -v13, v14, v8
	v_ldexp_f32 v4, v6, v7
	v_div_scale_f32 v8, null, v12, v12, v1
	v_cndmask_b32_e64 v13, 0, 0x42000000, s4
	s_delay_alu instid0(VALU_DEP_4) | instskip(NEXT) | instid1(VALU_DEP_4)
	v_div_fmas_f32 v2, v2, v22, v14
	v_log_f32_e32 v4, v4
	v_bfe_i32 v14, v16, 0, 16
	v_rcp_f32_e32 v16, v8
	v_fmac_f32_e32 v10, v5, v10
	v_div_scale_f32 v5, vcc_lo, v15, v12, v15
	v_div_fixup_f32 v7, v2, v12, v3
	s_delay_alu instid0(TRANS32_DEP_2) | instskip(SKIP_1) | instid1(TRANS32_DEP_1)
	v_sub_f32_e32 v2, v4, v13
	v_cvt_f32_i32_e32 v13, v14
	v_fma_f32 v19, -v8, v16, 1.0
	v_mul_f32_e32 v3, v5, v10
	v_cvt_f32_i32_e32 v11, v11
	v_cmp_gt_f32_e64 s4, 0x800000, v7
	v_div_scale_f32 v20, null, v12, v12, v13
	s_delay_alu instid0(VALU_DEP_4) | instskip(NEXT) | instid1(VALU_DEP_4)
	v_dual_fmac_f32 v16, v19, v16 :: v_dual_fma_f32 v14, -v9, v3, v5
	v_div_scale_f32 v19, null, v12, v12, v11
	s_delay_alu instid0(VALU_DEP_4) | instskip(NEXT) | instid1(VALU_DEP_3)
	v_cndmask_b32_e64 v4, 0, 32, s4
	v_dual_mul_f32 v23, v21, v16 :: v_dual_fmac_f32 v3, v14, v10
	v_rcp_f32_e32 v14, v20
	v_cndmask_b32_e64 v22, 0, 0x42000000, s4
	s_delay_alu instid0(VALU_DEP_3) | instskip(NEXT) | instid1(VALU_DEP_3)
	v_ldexp_f32 v4, v7, v4
	v_fma_f32 v5, -v9, v3, v5
	v_rcp_f32_e32 v9, v19
	s_delay_alu instid0(TRANS32_DEP_2) | instskip(NEXT) | instid1(VALU_DEP_3)
	v_fma_f32 v24, -v20, v14, 1.0
	v_log_f32_e32 v4, v4
	s_delay_alu instid0(VALU_DEP_2) | instskip(SKIP_2) | instid1(TRANS32_DEP_2)
	v_div_fmas_f32 v5, v5, v10, v3
	v_fma_f32 v3, -v8, v23, v21
	s_mov_b32 vcc_lo, s5
	v_fma_f32 v10, -v19, v9, 1.0
	v_fmac_f32_e32 v14, v24, v14
	v_div_scale_f32 v24, s4, v13, v12, v13
	s_delay_alu instid0(VALU_DEP_3) | instskip(SKIP_1) | instid1(VALU_DEP_3)
	v_dual_fmac_f32 v23, v3, v16 :: v_dual_fmac_f32 v9, v10, v9
	v_div_scale_f32 v10, s6, v11, v12, v11
	v_mul_f32_e32 v25, v24, v14
	v_sub_f32_e32 v3, v4, v22
	v_div_fixup_f32 v4, v5, v12, v15
	s_delay_alu instid0(VALU_DEP_4) | instskip(NEXT) | instid1(VALU_DEP_4)
	v_dual_fma_f32 v5, -v8, v23, v21 :: v_dual_mul_f32 v8, v10, v9
	v_fma_f32 v15, -v20, v25, v24
	s_delay_alu instid0(VALU_DEP_4) | instskip(NEXT) | instid1(VALU_DEP_4)
	v_pk_mul_f32 v[2:3], v[6:7], v[2:3]
	v_cmp_gt_f32_e64 s5, 0x800000, v4
	s_delay_alu instid0(VALU_DEP_4)
	v_div_fmas_f32 v5, v5, v16, v23
	v_fma_f32 v16, -v19, v8, v10
	v_fmac_f32_e32 v25, v15, v14
	s_mov_b32 vcc_lo, s4
	v_sub_f32_e32 v2, v17, v2
	v_div_fixup_f32 v5, v5, v12, v1
	v_fmac_f32_e32 v8, v16, v9
	v_fma_f32 v6, -v20, v25, v24
	v_cndmask_b32_e64 v21, 0, 32, s5
	s_delay_alu instid0(VALU_DEP_4) | instskip(NEXT) | instid1(VALU_DEP_4)
	v_cmp_gt_f32_e64 s7, 0x800000, v5
	v_fma_f32 v10, -v19, v8, v10
	s_delay_alu instid0(VALU_DEP_4)
	v_div_fmas_f32 v6, v6, v14, v25
	s_mov_b32 vcc_lo, s6
	v_ldexp_f32 v1, v4, v21
	v_cndmask_b32_e64 v7, 0, 32, s7
	v_div_fmas_f32 v8, v10, v9, v8
	v_div_fixup_f32 v6, v6, v12, v13
	v_cndmask_b32_e64 v10, 0, 0x42000000, s5
	v_log_f32_e32 v1, v1
	v_ldexp_f32 v9, v5, v7
	v_div_fixup_f32 v7, v8, v12, v11
	v_cmp_gt_f32_e32 vcc_lo, 0x800000, v6
	v_cndmask_b32_e64 v11, 0, 0x42000000, s7
	s_delay_alu instid0(VALU_DEP_4) | instskip(NEXT) | instid1(VALU_DEP_3)
	v_log_f32_e32 v9, v9
	v_cmp_gt_f32_e64 s4, 0x800000, v7
	v_cndmask_b32_e64 v12, 0, 32, vcc_lo
	v_sub_f32_e32 v8, v1, v10
	s_delay_alu instid0(VALU_DEP_3) | instskip(NEXT) | instid1(TRANS32_DEP_1)
	v_cndmask_b32_e64 v13, 0, 32, s4
	v_sub_f32_e32 v9, v9, v11
	s_delay_alu instid0(VALU_DEP_4) | instskip(SKIP_1) | instid1(VALU_DEP_4)
	v_ldexp_f32 v1, v6, v12
	v_sub_f32_e32 v11, v2, v3
	v_ldexp_f32 v10, v7, v13
	s_delay_alu instid0(VALU_DEP_4) | instskip(NEXT) | instid1(VALU_DEP_4)
	v_pk_mul_f32 v[2:3], v[4:5], v[8:9]
	v_log_f32_e32 v1, v1
	v_cndmask_b32_e64 v4, 0, 0x42000000, vcc_lo
	v_cndmask_b32_e64 v8, 0, 0x42000000, s4
	v_log_f32_e32 v5, v10
	s_delay_alu instid0(TRANS32_DEP_2) | instid1(VALU_DEP_2)
	v_dual_sub_f32 v2, v11, v2 :: v_dual_sub_f32 v4, v1, v4
	s_delay_alu instid0(TRANS32_DEP_1) | instid1(VALU_DEP_1)
	v_dual_sub_f32 v1, v2, v3 :: v_dual_sub_f32 v5, v5, v8
	s_delay_alu instid0(VALU_DEP_1) | instskip(NEXT) | instid1(VALU_DEP_1)
	v_pk_mul_f32 v[2:3], v[6:7], v[4:5]
	v_sub_f32_e32 v1, v1, v2
	s_delay_alu instid0(VALU_DEP_1) | instskip(SKIP_2) | instid1(SALU_CYCLE_1)
	v_sub_f32_e32 v19, v1, v3
	s_or_b32 exec_lo, exec_lo, s8
	s_and_b32 s2, s2, s3
	s_and_saveexec_b32 s3, s2
	s_cbranch_execz .LBB0_52
.LBB0_54:
	s_load_b64 s[0:1], s[0:1], 0x0
	v_add_nc_u32_e32 v0, v18, v0
	s_wait_kmcnt 0x0
	global_store_b32 v0, v19, s[0:1] scale_offset
	s_endpgm
	.section	.rodata,"a",@progbits
	.p2align	6, 0x0
	.amdhsa_kernel _Z7entropyPfPKcii
		.amdhsa_group_segment_fixed_size 0
		.amdhsa_private_segment_fixed_size 0
		.amdhsa_kernarg_size 280
		.amdhsa_user_sgpr_count 2
		.amdhsa_user_sgpr_dispatch_ptr 0
		.amdhsa_user_sgpr_queue_ptr 0
		.amdhsa_user_sgpr_kernarg_segment_ptr 1
		.amdhsa_user_sgpr_dispatch_id 0
		.amdhsa_user_sgpr_kernarg_preload_length 0
		.amdhsa_user_sgpr_kernarg_preload_offset 0
		.amdhsa_user_sgpr_private_segment_size 0
		.amdhsa_wavefront_size32 1
		.amdhsa_uses_dynamic_stack 0
		.amdhsa_enable_private_segment 0
		.amdhsa_system_sgpr_workgroup_id_x 1
		.amdhsa_system_sgpr_workgroup_id_y 1
		.amdhsa_system_sgpr_workgroup_id_z 0
		.amdhsa_system_sgpr_workgroup_info 0
		.amdhsa_system_vgpr_workitem_id 1
		.amdhsa_next_free_vgpr 33
		.amdhsa_next_free_sgpr 34
		.amdhsa_named_barrier_count 0
		.amdhsa_reserve_vcc 1
		.amdhsa_float_round_mode_32 0
		.amdhsa_float_round_mode_16_64 0
		.amdhsa_float_denorm_mode_32 3
		.amdhsa_float_denorm_mode_16_64 3
		.amdhsa_fp16_overflow 0
		.amdhsa_memory_ordered 1
		.amdhsa_forward_progress 1
		.amdhsa_inst_pref_size 109
		.amdhsa_round_robin_scheduling 0
		.amdhsa_exception_fp_ieee_invalid_op 0
		.amdhsa_exception_fp_denorm_src 0
		.amdhsa_exception_fp_ieee_div_zero 0
		.amdhsa_exception_fp_ieee_overflow 0
		.amdhsa_exception_fp_ieee_underflow 0
		.amdhsa_exception_fp_ieee_inexact 0
		.amdhsa_exception_int_div_zero 0
	.end_amdhsa_kernel
	.text
.Lfunc_end0:
	.size	_Z7entropyPfPKcii, .Lfunc_end0-_Z7entropyPfPKcii
                                        ; -- End function
	.set _Z7entropyPfPKcii.num_vgpr, 33
	.set _Z7entropyPfPKcii.num_agpr, 0
	.set _Z7entropyPfPKcii.numbered_sgpr, 34
	.set _Z7entropyPfPKcii.num_named_barrier, 0
	.set _Z7entropyPfPKcii.private_seg_size, 0
	.set _Z7entropyPfPKcii.uses_vcc, 1
	.set _Z7entropyPfPKcii.uses_flat_scratch, 0
	.set _Z7entropyPfPKcii.has_dyn_sized_stack, 0
	.set _Z7entropyPfPKcii.has_recursion, 0
	.set _Z7entropyPfPKcii.has_indirect_call, 0
	.section	.AMDGPU.csdata,"",@progbits
; Kernel info:
; codeLenInByte = 13892
; TotalNumSgprs: 36
; NumVgprs: 33
; ScratchSize: 0
; MemoryBound: 0
; FloatMode: 240
; IeeeMode: 1
; LDSByteSize: 0 bytes/workgroup (compile time only)
; SGPRBlocks: 0
; VGPRBlocks: 2
; NumSGPRsForWavesPerEU: 36
; NumVGPRsForWavesPerEU: 33
; NamedBarCnt: 0
; Occupancy: 16
; WaveLimiterHint : 0
; COMPUTE_PGM_RSRC2:SCRATCH_EN: 0
; COMPUTE_PGM_RSRC2:USER_SGPR: 2
; COMPUTE_PGM_RSRC2:TRAP_HANDLER: 0
; COMPUTE_PGM_RSRC2:TGID_X_EN: 1
; COMPUTE_PGM_RSRC2:TGID_Y_EN: 1
; COMPUTE_PGM_RSRC2:TGID_Z_EN: 0
; COMPUTE_PGM_RSRC2:TIDIG_COMP_CNT: 1
	.section	.text._Z11entropy_optILi16ELi16EEvPfPKcPKfii,"axG",@progbits,_Z11entropy_optILi16ELi16EEvPfPKcPKfii,comdat
	.protected	_Z11entropy_optILi16ELi16EEvPfPKcPKfii ; -- Begin function _Z11entropy_optILi16ELi16EEvPfPKcPKfii
	.globl	_Z11entropy_optILi16ELi16EEvPfPKcPKfii
	.p2align	8
	.type	_Z11entropy_optILi16ELi16EEvPfPKcPKfii,@function
_Z11entropy_optILi16ELi16EEvPfPKcPKfii: ; @_Z11entropy_optILi16ELi16EEvPfPKcPKfii
; %bb.0:
	s_clause 0x1
	s_load_b32 s2, s[0:1], 0x2c
	s_load_b64 s[16:17], s[0:1], 0x18
	s_bfe_u32 s4, ttmp6, 0x4000c
	s_bfe_u32 s5, ttmp6, 0x40010
	s_add_co_i32 s4, s4, 1
	s_add_co_i32 s5, s5, 1
	s_and_b32 s3, ttmp6, 15
	s_bfe_u32 s6, ttmp6, 0x40004
	s_mul_i32 s4, ttmp9, s4
	s_mul_i32 s5, ttmp7, s5
	s_getreg_b32 s7, hwreg(HW_REG_IB_STS2, 6, 4)
	v_bfe_u32 v4, v0, 10, 10
	s_add_co_i32 s3, s3, s4
	s_add_co_i32 s6, s6, s5
	v_and_b32_e32 v2, 0x3ff, v0
	s_load_b64 s[14:15], s[0:1], 0x8
	s_delay_alu instid0(VALU_DEP_1)
	v_dual_mov_b32 v1, 0 :: v_dual_lshlrev_b32 v5, 2, v2
	s_wait_kmcnt 0x0
	s_lshr_b32 s4, s2, 16
	s_and_b32 s2, s2, 0xffff
	s_cmp_eq_u32 s7, 0
	s_cselect_b32 s5, ttmp7, s6
	s_cselect_b32 s3, ttmp9, s3
	v_mad_u32 v3, s5, s4, v4
	v_mad_u32 v0, s3, s2, v2
	v_lshl_add_u32 v2, v4, 6, v5
	ds_store_2addr_stride64_b32 v2, v1, v1 offset1:4
	ds_store_2addr_stride64_b32 v2, v1, v1 offset0:8 offset1:12
	ds_store_2addr_stride64_b32 v2, v1, v1 offset0:16 offset1:20
	;; [unrolled: 1-line block ×4, first 2 shown]
	v_dual_add_nc_u32 v5, -2, v3 :: v_dual_add_nc_u32 v4, -2, v0
	v_cmp_lt_i32_e32 vcc_lo, 1, v3
	v_cmp_lt_i32_e64 s2, 1, v0
	ds_store_2addr_stride64_b32 v2, v1, v1 offset0:40 offset1:44
	v_cmp_gt_i32_e64 s4, s16, v5
	v_mul_lo_u32 v8, v5, s17
	v_cmp_gt_i32_e64 s3, s17, v4
	ds_store_2addr_stride64_b32 v2, v1, v1 offset0:48 offset1:52
	ds_store_2addr_stride64_b32 v2, v1, v1 offset0:56 offset1:60
	s_and_b32 s11, vcc_lo, s4
	s_delay_alu instid0(SALU_CYCLE_1) | instskip(NEXT) | instid1(SALU_CYCLE_1)
	s_and_b32 s4, s2, s11
	s_and_b32 s5, s3, s4
	s_delay_alu instid0(SALU_CYCLE_1)
	s_and_saveexec_b32 s4, s5
	s_cbranch_execz .LBB1_2
; %bb.1:
	v_add_nc_u32_e32 v1, v4, v8
	global_load_i8 v1, v1, s[14:15]
	s_wait_loadcnt 0x0
	v_lshl_add_u32 v5, v1, 10, v2
	ds_load_b32 v1, v5
	s_wait_dscnt 0x0
	v_dual_mov_b32 v1, 1 :: v_dual_add_nc_u32 v6, 1, v1
	ds_store_b32 v5, v6
.LBB1_2:
	s_or_b32 exec_lo, exec_lo, s4
	v_cmp_lt_i32_e64 s4, 0, v0
	v_cmp_ge_i32_e64 s5, s17, v0
	v_add_nc_u32_e32 v5, -1, v0
	s_and_b32 s6, s4, s11
	s_delay_alu instid0(SALU_CYCLE_1) | instskip(NEXT) | instid1(SALU_CYCLE_1)
	s_and_b32 s7, s5, s6
	s_and_saveexec_b32 s6, s7
	s_cbranch_execz .LBB1_4
; %bb.3:
	v_add_nc_u32_e32 v6, v5, v8
	v_add_nc_u16 v1, v1, 1
	global_load_i8 v6, v6, s[14:15]
	s_wait_loadcnt 0x0
	v_lshl_add_u32 v6, v6, 10, v2
	ds_load_b32 v7, v6
	s_wait_dscnt 0x0
	v_add_nc_u32_e32 v7, 1, v7
	ds_store_b32 v6, v7
.LBB1_4:
	s_or_b32 exec_lo, exec_lo, s6
	v_cmp_lt_i32_e64 s6, -1, v0
	v_cmp_gt_i32_e32 vcc_lo, s17, v0
	s_and_b32 s7, s6, s11
	s_delay_alu instid0(SALU_CYCLE_1) | instskip(NEXT) | instid1(SALU_CYCLE_1)
	s_and_b32 s8, vcc_lo, s7
	s_and_saveexec_b32 s7, s8
	s_cbranch_execz .LBB1_6
; %bb.5:
	v_add_nc_u32_e32 v6, v0, v8
	v_add_nc_u16 v1, v1, 1
	global_load_i8 v6, v6, s[14:15]
	s_wait_loadcnt 0x0
	v_lshl_add_u32 v6, v6, 10, v2
	ds_load_b32 v7, v6
	s_wait_dscnt 0x0
	v_add_nc_u32_e32 v7, 1, v7
	ds_store_b32 v6, v7
.LBB1_6:
	s_or_b32 exec_lo, exec_lo, s7
	v_add_nc_u32_e32 v6, 1, v0
	v_cmp_lt_i32_e64 s7, -2, v0
	s_delay_alu instid0(VALU_DEP_2) | instskip(SKIP_1) | instid1(SALU_CYCLE_1)
	v_cmp_gt_i32_e64 s8, s17, v6
	s_and_b32 s9, s7, s11
	s_and_b32 s10, s8, s9
	s_delay_alu instid0(SALU_CYCLE_1)
	s_and_saveexec_b32 s9, s10
	s_cbranch_execz .LBB1_8
; %bb.7:
	v_add_nc_u32_e32 v7, v6, v8
	v_add_nc_u16 v1, v1, 1
	global_load_i8 v7, v7, s[14:15]
	s_wait_loadcnt 0x0
	v_lshl_add_u32 v7, v7, 10, v2
	ds_load_b32 v9, v7
	s_wait_dscnt 0x0
	v_add_nc_u32_e32 v9, 1, v9
	ds_store_b32 v7, v9
.LBB1_8:
	s_or_b32 exec_lo, exec_lo, s9
	v_add_nc_u32_e32 v7, 2, v0
	v_cmp_lt_i32_e64 s9, -3, v0
	s_delay_alu instid0(VALU_DEP_2) | instskip(SKIP_1) | instid1(SALU_CYCLE_1)
	v_cmp_gt_i32_e64 s10, s17, v7
	s_and_b32 s11, s9, s11
	s_and_b32 s12, s10, s11
	s_delay_alu instid0(SALU_CYCLE_1)
	s_and_saveexec_b32 s11, s12
	s_cbranch_execz .LBB1_10
; %bb.9:
	v_add_nc_u32_e32 v8, v7, v8
	v_add_nc_u16 v1, v1, 1
	global_load_i8 v8, v8, s[14:15]
	s_wait_loadcnt 0x0
	v_lshl_add_u32 v8, v8, 10, v2
	ds_load_b32 v9, v8
	s_wait_dscnt 0x0
	v_add_nc_u32_e32 v9, 1, v9
	ds_store_b32 v8, v9
.LBB1_10:
	s_or_b32 exec_lo, exec_lo, s11
	v_add_nc_u32_e32 v8, -1, v3
	v_cmp_lt_i32_e64 s11, 0, v3
	v_cmp_ge_i32_e64 s12, s16, v3
	s_delay_alu instid0(VALU_DEP_3) | instskip(SKIP_1) | instid1(SALU_CYCLE_1)
	v_mul_lo_u32 v8, v8, s17
	s_and_b32 s11, s11, s12
	s_and_b32 s12, s2, s11
	s_delay_alu instid0(SALU_CYCLE_1) | instskip(NEXT) | instid1(SALU_CYCLE_1)
	s_and_b32 s13, s3, s12
	s_and_saveexec_b32 s12, s13
	s_cbranch_execz .LBB1_12
; %bb.11:
	s_delay_alu instid0(VALU_DEP_1)
	v_add_nc_u32_e32 v9, v4, v8
	v_add_nc_u16 v1, v1, 1
	global_load_i8 v9, v9, s[14:15]
	s_wait_loadcnt 0x0
	v_lshl_add_u32 v9, v9, 10, v2
	ds_load_b32 v10, v9
	s_wait_dscnt 0x0
	v_add_nc_u32_e32 v10, 1, v10
	ds_store_b32 v9, v10
.LBB1_12:
	s_or_b32 exec_lo, exec_lo, s12
	s_and_b32 s12, s4, s11
	s_delay_alu instid0(SALU_CYCLE_1) | instskip(NEXT) | instid1(SALU_CYCLE_1)
	s_and_b32 s13, s5, s12
	s_and_saveexec_b32 s12, s13
	s_cbranch_execz .LBB1_14
; %bb.13:
	v_add_nc_u32_e32 v9, v5, v8
	v_add_nc_u16 v1, v1, 1
	global_load_i8 v9, v9, s[14:15]
	s_wait_loadcnt 0x0
	v_lshl_add_u32 v9, v9, 10, v2
	ds_load_b32 v10, v9
	s_wait_dscnt 0x0
	v_add_nc_u32_e32 v10, 1, v10
	ds_store_b32 v9, v10
.LBB1_14:
	s_or_b32 exec_lo, exec_lo, s12
	s_and_b32 s12, s6, s11
	s_delay_alu instid0(SALU_CYCLE_1) | instskip(NEXT) | instid1(SALU_CYCLE_1)
	s_and_b32 s13, vcc_lo, s12
	s_and_saveexec_b32 s12, s13
	s_cbranch_execz .LBB1_16
; %bb.15:
	v_add_nc_u32_e32 v9, v0, v8
	v_add_nc_u16 v1, v1, 1
	global_load_i8 v9, v9, s[14:15]
	s_wait_loadcnt 0x0
	v_lshl_add_u32 v9, v9, 10, v2
	ds_load_b32 v10, v9
	s_wait_dscnt 0x0
	v_add_nc_u32_e32 v10, 1, v10
	ds_store_b32 v9, v10
.LBB1_16:
	s_or_b32 exec_lo, exec_lo, s12
	s_and_b32 s12, s7, s11
	s_delay_alu instid0(SALU_CYCLE_1) | instskip(NEXT) | instid1(SALU_CYCLE_1)
	s_and_b32 s13, s8, s12
	s_and_saveexec_b32 s12, s13
	s_cbranch_execz .LBB1_18
; %bb.17:
	v_add_nc_u32_e32 v9, v6, v8
	v_add_nc_u16 v1, v1, 1
	global_load_i8 v9, v9, s[14:15]
	s_wait_loadcnt 0x0
	v_lshl_add_u32 v9, v9, 10, v2
	ds_load_b32 v10, v9
	s_wait_dscnt 0x0
	v_add_nc_u32_e32 v10, 1, v10
	ds_store_b32 v9, v10
.LBB1_18:
	s_or_b32 exec_lo, exec_lo, s12
	s_and_b32 s11, s9, s11
	s_delay_alu instid0(SALU_CYCLE_1) | instskip(NEXT) | instid1(SALU_CYCLE_1)
	s_and_b32 s12, s10, s11
	s_and_saveexec_b32 s11, s12
	s_cbranch_execz .LBB1_20
; %bb.19:
	v_add_nc_u32_e32 v8, v7, v8
	v_add_nc_u16 v1, v1, 1
	global_load_i8 v8, v8, s[14:15]
	s_wait_loadcnt 0x0
	v_lshl_add_u32 v8, v8, 10, v2
	ds_load_b32 v9, v8
	s_wait_dscnt 0x0
	v_add_nc_u32_e32 v9, 1, v9
	ds_store_b32 v8, v9
.LBB1_20:
	s_or_b32 exec_lo, exec_lo, s11
	v_cmp_lt_i32_e64 s12, -1, v3
	v_cmp_gt_i32_e64 s11, s16, v3
	v_mul_lo_u32 v8, v3, s17
	s_and_b32 s12, s12, s11
	s_delay_alu instid0(SALU_CYCLE_1) | instskip(NEXT) | instid1(SALU_CYCLE_1)
	s_and_b32 s13, s2, s12
	s_and_b32 s18, s3, s13
	s_delay_alu instid0(SALU_CYCLE_1)
	s_and_saveexec_b32 s13, s18
	s_cbranch_execz .LBB1_22
; %bb.21:
	s_delay_alu instid0(VALU_DEP_1)
	v_add_nc_u32_e32 v9, v4, v8
	v_add_nc_u16 v1, v1, 1
	global_load_i8 v9, v9, s[14:15]
	s_wait_loadcnt 0x0
	v_lshl_add_u32 v9, v9, 10, v2
	ds_load_b32 v10, v9
	s_wait_dscnt 0x0
	v_add_nc_u32_e32 v10, 1, v10
	ds_store_b32 v9, v10
.LBB1_22:
	s_or_b32 exec_lo, exec_lo, s13
	s_and_b32 s13, s4, s12
	s_delay_alu instid0(SALU_CYCLE_1) | instskip(NEXT) | instid1(SALU_CYCLE_1)
	s_and_b32 s18, s5, s13
	s_and_saveexec_b32 s13, s18
	s_cbranch_execz .LBB1_24
; %bb.23:
	v_add_nc_u32_e32 v9, v5, v8
	v_add_nc_u16 v1, v1, 1
	global_load_i8 v9, v9, s[14:15]
	s_wait_loadcnt 0x0
	v_lshl_add_u32 v9, v9, 10, v2
	ds_load_b32 v10, v9
	s_wait_dscnt 0x0
	v_add_nc_u32_e32 v10, 1, v10
	ds_store_b32 v9, v10
.LBB1_24:
	s_or_b32 exec_lo, exec_lo, s13
	s_and_b32 s13, s6, s12
	s_delay_alu instid0(SALU_CYCLE_1) | instskip(NEXT) | instid1(SALU_CYCLE_1)
	s_and_b32 s18, vcc_lo, s13
	s_and_saveexec_b32 s13, s18
	s_cbranch_execz .LBB1_26
; %bb.25:
	v_add_nc_u32_e32 v9, v0, v8
	v_add_nc_u16 v1, v1, 1
	global_load_i8 v9, v9, s[14:15]
	s_wait_loadcnt 0x0
	v_lshl_add_u32 v9, v9, 10, v2
	ds_load_b32 v10, v9
	s_wait_dscnt 0x0
	v_add_nc_u32_e32 v10, 1, v10
	ds_store_b32 v9, v10
.LBB1_26:
	s_or_b32 exec_lo, exec_lo, s13
	s_and_b32 s13, s7, s12
	s_delay_alu instid0(SALU_CYCLE_1) | instskip(NEXT) | instid1(SALU_CYCLE_1)
	s_and_b32 s18, s8, s13
	s_and_saveexec_b32 s13, s18
	s_cbranch_execz .LBB1_28
; %bb.27:
	v_add_nc_u32_e32 v9, v6, v8
	v_add_nc_u16 v1, v1, 1
	global_load_i8 v9, v9, s[14:15]
	s_wait_loadcnt 0x0
	v_lshl_add_u32 v9, v9, 10, v2
	ds_load_b32 v10, v9
	s_wait_dscnt 0x0
	v_add_nc_u32_e32 v10, 1, v10
	ds_store_b32 v9, v10
.LBB1_28:
	s_or_b32 exec_lo, exec_lo, s13
	s_and_b32 s12, s9, s12
	s_delay_alu instid0(SALU_CYCLE_1) | instskip(NEXT) | instid1(SALU_CYCLE_1)
	s_and_b32 s13, s10, s12
	s_and_saveexec_b32 s12, s13
	s_cbranch_execz .LBB1_30
; %bb.29:
	v_add_nc_u32_e32 v9, v7, v8
	v_add_nc_u16 v1, v1, 1
	global_load_i8 v9, v9, s[14:15]
	s_wait_loadcnt 0x0
	v_lshl_add_u32 v9, v9, 10, v2
	ds_load_b32 v10, v9
	s_wait_dscnt 0x0
	v_add_nc_u32_e32 v10, 1, v10
	ds_store_b32 v9, v10
.LBB1_30:
	s_or_b32 exec_lo, exec_lo, s12
	v_add_nc_u32_e32 v9, 1, v3
	v_cmp_lt_i32_e64 s12, -2, v3
	s_delay_alu instid0(VALU_DEP_2) | instskip(SKIP_2) | instid1(SALU_CYCLE_1)
	v_cmp_gt_i32_e64 s13, s16, v9
	v_add_nc_u32_e32 v9, s17, v8
	s_and_b32 s12, s12, s13
	s_and_b32 s13, s2, s12
	s_delay_alu instid0(SALU_CYCLE_1) | instskip(NEXT) | instid1(SALU_CYCLE_1)
	s_and_b32 s18, s3, s13
	s_and_saveexec_b32 s13, s18
	s_cbranch_execz .LBB1_32
; %bb.31:
	v_add_nc_u32_e32 v10, v4, v9
	v_add_nc_u16 v1, v1, 1
	global_load_i8 v10, v10, s[14:15]
	s_wait_loadcnt 0x0
	v_lshl_add_u32 v10, v10, 10, v2
	ds_load_b32 v11, v10
	s_wait_dscnt 0x0
	v_add_nc_u32_e32 v11, 1, v11
	ds_store_b32 v10, v11
.LBB1_32:
	s_or_b32 exec_lo, exec_lo, s13
	s_and_b32 s13, s4, s12
	s_delay_alu instid0(SALU_CYCLE_1) | instskip(NEXT) | instid1(SALU_CYCLE_1)
	s_and_b32 s18, s5, s13
	s_and_saveexec_b32 s13, s18
	s_cbranch_execz .LBB1_34
; %bb.33:
	v_add_nc_u32_e32 v10, v5, v9
	v_add_nc_u16 v1, v1, 1
	global_load_i8 v10, v10, s[14:15]
	s_wait_loadcnt 0x0
	v_lshl_add_u32 v10, v10, 10, v2
	ds_load_b32 v11, v10
	s_wait_dscnt 0x0
	v_add_nc_u32_e32 v11, 1, v11
	ds_store_b32 v10, v11
.LBB1_34:
	s_or_b32 exec_lo, exec_lo, s13
	s_and_b32 s13, s6, s12
	s_delay_alu instid0(SALU_CYCLE_1) | instskip(NEXT) | instid1(SALU_CYCLE_1)
	s_and_b32 s18, vcc_lo, s13
	s_and_saveexec_b32 s13, s18
	s_cbranch_execz .LBB1_36
; %bb.35:
	v_add_nc_u32_e32 v10, v0, v9
	v_add_nc_u16 v1, v1, 1
	global_load_i8 v10, v10, s[14:15]
	s_wait_loadcnt 0x0
	v_lshl_add_u32 v10, v10, 10, v2
	ds_load_b32 v11, v10
	s_wait_dscnt 0x0
	v_add_nc_u32_e32 v11, 1, v11
	ds_store_b32 v10, v11
.LBB1_36:
	s_or_b32 exec_lo, exec_lo, s13
	s_and_b32 s13, s7, s12
	s_delay_alu instid0(SALU_CYCLE_1) | instskip(NEXT) | instid1(SALU_CYCLE_1)
	s_and_b32 s18, s8, s13
	s_and_saveexec_b32 s13, s18
	s_cbranch_execz .LBB1_38
; %bb.37:
	v_add_nc_u32_e32 v10, v6, v9
	v_add_nc_u16 v1, v1, 1
	global_load_i8 v10, v10, s[14:15]
	s_wait_loadcnt 0x0
	v_lshl_add_u32 v10, v10, 10, v2
	ds_load_b32 v11, v10
	s_wait_dscnt 0x0
	v_add_nc_u32_e32 v11, 1, v11
	ds_store_b32 v10, v11
.LBB1_38:
	s_or_b32 exec_lo, exec_lo, s13
	s_and_b32 s12, s9, s12
	s_delay_alu instid0(SALU_CYCLE_1) | instskip(NEXT) | instid1(SALU_CYCLE_1)
	s_and_b32 s13, s10, s12
	s_and_saveexec_b32 s12, s13
	s_cbranch_execz .LBB1_40
; %bb.39:
	v_add_nc_u32_e32 v10, v7, v9
	v_add_nc_u16 v1, v1, 1
	global_load_i8 v10, v10, s[14:15]
	s_wait_loadcnt 0x0
	v_lshl_add_u32 v10, v10, 10, v2
	ds_load_b32 v11, v10
	s_wait_dscnt 0x0
	v_add_nc_u32_e32 v11, 1, v11
	ds_store_b32 v10, v11
.LBB1_40:
	s_or_b32 exec_lo, exec_lo, s12
	v_add_nc_u32_e32 v10, 2, v3
	v_cmp_lt_i32_e64 s12, -3, v3
	v_add_nc_u32_e32 v3, s17, v9
	s_delay_alu instid0(VALU_DEP_3) | instskip(SKIP_1) | instid1(SALU_CYCLE_1)
	v_cmp_gt_i32_e64 s13, s16, v10
	s_and_b32 s12, s12, s13
	s_and_b32 s2, s2, s12
	s_delay_alu instid0(SALU_CYCLE_1) | instskip(NEXT) | instid1(SALU_CYCLE_1)
	s_and_b32 s3, s3, s2
	s_and_saveexec_b32 s2, s3
	s_cbranch_execz .LBB1_42
; %bb.41:
	v_add_nc_u32_e32 v4, v4, v3
	v_add_nc_u16 v1, v1, 1
	global_load_i8 v4, v4, s[14:15]
	s_wait_loadcnt 0x0
	v_lshl_add_u32 v4, v4, 10, v2
	ds_load_b32 v9, v4
	s_wait_dscnt 0x0
	v_add_nc_u32_e32 v9, 1, v9
	ds_store_b32 v4, v9
.LBB1_42:
	s_or_b32 exec_lo, exec_lo, s2
	s_and_b32 s2, s4, s12
	s_delay_alu instid0(SALU_CYCLE_1) | instskip(NEXT) | instid1(SALU_CYCLE_1)
	s_and_b32 s3, s5, s2
	s_and_saveexec_b32 s2, s3
	s_cbranch_execz .LBB1_44
; %bb.43:
	v_add_nc_u32_e32 v4, v5, v3
	v_add_nc_u16 v1, v1, 1
	global_load_i8 v4, v4, s[14:15]
	s_wait_loadcnt 0x0
	v_lshl_add_u32 v4, v4, 10, v2
	ds_load_b32 v5, v4
	s_wait_dscnt 0x0
	v_add_nc_u32_e32 v5, 1, v5
	ds_store_b32 v4, v5
.LBB1_44:
	s_or_b32 exec_lo, exec_lo, s2
	s_and_b32 s2, s6, s12
	s_delay_alu instid0(SALU_CYCLE_1) | instskip(NEXT) | instid1(SALU_CYCLE_1)
	s_and_b32 s3, vcc_lo, s2
	s_and_saveexec_b32 s2, s3
	s_cbranch_execz .LBB1_46
; %bb.45:
	v_add_nc_u32_e32 v4, v0, v3
	v_add_nc_u16 v1, v1, 1
	global_load_i8 v4, v4, s[14:15]
	s_wait_loadcnt 0x0
	v_lshl_add_u32 v4, v4, 10, v2
	ds_load_b32 v5, v4
	s_wait_dscnt 0x0
	v_add_nc_u32_e32 v5, 1, v5
	ds_store_b32 v4, v5
.LBB1_46:
	s_or_b32 exec_lo, exec_lo, s2
	s_and_b32 s2, s7, s12
	s_delay_alu instid0(SALU_CYCLE_1) | instskip(NEXT) | instid1(SALU_CYCLE_1)
	s_and_b32 s3, s8, s2
	s_and_saveexec_b32 s2, s3
	s_cbranch_execz .LBB1_48
; %bb.47:
	v_add_nc_u32_e32 v4, v6, v3
	v_add_nc_u16 v1, v1, 1
	global_load_i8 v4, v4, s[14:15]
	s_wait_loadcnt 0x0
	v_lshl_add_u32 v4, v4, 10, v2
	ds_load_b32 v5, v4
	s_wait_dscnt 0x0
	v_add_nc_u32_e32 v5, 1, v5
	ds_store_b32 v4, v5
.LBB1_48:
	s_or_b32 exec_lo, exec_lo, s2
	s_and_b32 s2, s9, s12
	s_delay_alu instid0(SALU_CYCLE_1) | instskip(NEXT) | instid1(SALU_CYCLE_1)
	s_and_b32 s3, s10, s2
	s_and_saveexec_b32 s2, s3
	s_cbranch_execnz .LBB1_51
; %bb.49:
	s_or_b32 exec_lo, exec_lo, s2
	s_and_b32 s2, vcc_lo, s11
	s_delay_alu instid0(SALU_CYCLE_1)
	s_and_saveexec_b32 s3, s2
	s_cbranch_execnz .LBB1_52
.LBB1_50:
	s_endpgm
.LBB1_51:
	v_add_nc_u32_e32 v3, v7, v3
	v_add_nc_u16 v1, v1, 1
	global_load_i8 v3, v3, s[14:15]
	s_wait_loadcnt 0x0
	v_lshl_add_u32 v3, v3, 10, v2
	ds_load_b32 v4, v3
	s_wait_dscnt 0x0
	v_add_nc_u32_e32 v4, 1, v4
	ds_store_b32 v3, v4
	s_or_b32 exec_lo, exec_lo, s2
	s_and_b32 s2, vcc_lo, s11
	s_delay_alu instid0(SALU_CYCLE_1)
	s_and_saveexec_b32 s3, s2
	s_cbranch_execz .LBB1_50
.LBB1_52:
	s_load_b64 s[2:3], s[0:1], 0x10
	ds_load_2addr_stride64_b32 v[4:5], v2 offset1:4
	ds_load_2addr_stride64_b32 v[6:7], v2 offset0:8 offset1:12
	ds_load_2addr_stride64_b32 v[10:11], v2 offset0:16 offset1:20
	v_cvt_f32_ubyte0_e32 v1, v1
	s_wait_xcnt 0x0
	s_load_b64 s[0:1], s[0:1], 0x0
	s_wait_dscnt 0x2
	s_wait_kmcnt 0x0
	s_clause 0x1
	global_load_b32 v9, v4, s[2:3] scale_offset
	global_load_b32 v12, v5, s[2:3] scale_offset
	s_wait_xcnt 0x0
	ds_load_2addr_stride64_b32 v[4:5], v2 offset0:24 offset1:28
	s_wait_dscnt 0x2
	s_clause 0x1
	global_load_b32 v13, v6, s[2:3] scale_offset
	global_load_b32 v14, v7, s[2:3] scale_offset
	s_wait_xcnt 0x0
	ds_load_2addr_stride64_b32 v[6:7], v2 offset0:32 offset1:36
	s_wait_dscnt 0x2
	;; [unrolled: 6-line block ×4, first 2 shown]
	s_clause 0x1
	global_load_b32 v19, v6, s[2:3] scale_offset
	global_load_b32 v20, v7, s[2:3] scale_offset
	ds_load_2addr_stride64_b32 v[2:3], v2 offset0:56 offset1:60
	s_wait_dscnt 0x2
	s_clause 0x1
	global_load_b32 v6, v10, s[2:3] scale_offset
	global_load_b32 v7, v11, s[2:3] scale_offset
	s_wait_dscnt 0x1
	s_clause 0x1
	global_load_b32 v21, v4, s[2:3] scale_offset
	global_load_b32 v22, v5, s[2:3] scale_offset
	;; [unrolled: 4-line block ×3, first 2 shown]
	s_wait_xcnt 0x0
	v_cmp_gt_f32_e64 s2, 0x800000, v1
	v_add_nc_u32_e32 v0, v8, v0
	s_delay_alu instid0(VALU_DEP_2) | instskip(SKIP_4) | instid1(VALU_DEP_2)
	v_cndmask_b32_e64 v10, 0, 32, s2
	s_wait_loadcnt 0xe
	v_sub_f32_e64 v2, -v9, v12
	v_cndmask_b32_e64 v9, 0, 0x42000000, s2
	s_wait_loadcnt 0xd
	v_sub_f32_e32 v2, v2, v13
	s_wait_loadcnt 0xc
	s_delay_alu instid0(VALU_DEP_1) | instskip(SKIP_1) | instid1(VALU_DEP_1)
	v_sub_f32_e32 v2, v2, v14
	s_wait_loadcnt 0xb
	v_sub_f32_e32 v2, v2, v15
	s_wait_loadcnt 0xa
	s_delay_alu instid0(VALU_DEP_1) | instskip(SKIP_1) | instid1(VALU_DEP_1)
	v_sub_f32_e32 v2, v2, v16
	;; [unrolled: 5-line block ×6, first 2 shown]
	s_wait_loadcnt 0x1
	v_sub_f32_e32 v2, v2, v23
	s_wait_loadcnt 0x0
	s_delay_alu instid0(VALU_DEP_1) | instskip(NEXT) | instid1(VALU_DEP_1)
	v_sub_f32_e32 v2, v2, v24
	v_div_scale_f32 v3, null, v1, v1, v2
	v_div_scale_f32 v6, vcc_lo, v2, v1, v2
	s_delay_alu instid0(VALU_DEP_2) | instskip(SKIP_1) | instid1(TRANS32_DEP_1)
	v_rcp_f32_e32 v4, v3
	v_nop
	v_fma_f32 v5, -v3, v4, 1.0
	s_delay_alu instid0(VALU_DEP_1) | instskip(NEXT) | instid1(VALU_DEP_1)
	v_fmac_f32_e32 v4, v5, v4
	v_mul_f32_e32 v5, v6, v4
	s_delay_alu instid0(VALU_DEP_1) | instskip(NEXT) | instid1(VALU_DEP_1)
	v_fma_f32 v7, -v3, v5, v6
	v_fmac_f32_e32 v5, v7, v4
	v_ldexp_f32 v7, v1, v10
	s_delay_alu instid0(VALU_DEP_2) | instskip(NEXT) | instid1(VALU_DEP_2)
	v_fma_f32 v3, -v3, v5, v6
	v_log_f32_e32 v6, v7
	s_delay_alu instid0(VALU_DEP_1) | instskip(NEXT) | instid1(VALU_DEP_1)
	v_div_fmas_f32 v3, v3, v4, v5
	v_div_fixup_f32 v1, v3, v1, v2
	s_delay_alu instid0(TRANS32_DEP_1) | instskip(NEXT) | instid1(VALU_DEP_1)
	v_sub_f32_e32 v2, v6, v9
	v_add_f32_e32 v1, v2, v1
	global_store_b32 v0, v1, s[0:1] scale_offset
	s_endpgm
	.section	.rodata,"a",@progbits
	.p2align	6, 0x0
	.amdhsa_kernel _Z11entropy_optILi16ELi16EEvPfPKcPKfii
		.amdhsa_group_segment_fixed_size 16384
		.amdhsa_private_segment_fixed_size 0
		.amdhsa_kernarg_size 288
		.amdhsa_user_sgpr_count 2
		.amdhsa_user_sgpr_dispatch_ptr 0
		.amdhsa_user_sgpr_queue_ptr 0
		.amdhsa_user_sgpr_kernarg_segment_ptr 1
		.amdhsa_user_sgpr_dispatch_id 0
		.amdhsa_user_sgpr_kernarg_preload_length 0
		.amdhsa_user_sgpr_kernarg_preload_offset 0
		.amdhsa_user_sgpr_private_segment_size 0
		.amdhsa_wavefront_size32 1
		.amdhsa_uses_dynamic_stack 0
		.amdhsa_enable_private_segment 0
		.amdhsa_system_sgpr_workgroup_id_x 1
		.amdhsa_system_sgpr_workgroup_id_y 1
		.amdhsa_system_sgpr_workgroup_id_z 0
		.amdhsa_system_sgpr_workgroup_info 0
		.amdhsa_system_vgpr_workitem_id 1
		.amdhsa_next_free_vgpr 25
		.amdhsa_next_free_sgpr 19
		.amdhsa_named_barrier_count 0
		.amdhsa_reserve_vcc 1
		.amdhsa_float_round_mode_32 0
		.amdhsa_float_round_mode_16_64 0
		.amdhsa_float_denorm_mode_32 3
		.amdhsa_float_denorm_mode_16_64 3
		.amdhsa_fp16_overflow 0
		.amdhsa_memory_ordered 1
		.amdhsa_forward_progress 1
		.amdhsa_inst_pref_size 27
		.amdhsa_round_robin_scheduling 0
		.amdhsa_exception_fp_ieee_invalid_op 0
		.amdhsa_exception_fp_denorm_src 0
		.amdhsa_exception_fp_ieee_div_zero 0
		.amdhsa_exception_fp_ieee_overflow 0
		.amdhsa_exception_fp_ieee_underflow 0
		.amdhsa_exception_fp_ieee_inexact 0
		.amdhsa_exception_int_div_zero 0
	.end_amdhsa_kernel
	.section	.text._Z11entropy_optILi16ELi16EEvPfPKcPKfii,"axG",@progbits,_Z11entropy_optILi16ELi16EEvPfPKcPKfii,comdat
.Lfunc_end1:
	.size	_Z11entropy_optILi16ELi16EEvPfPKcPKfii, .Lfunc_end1-_Z11entropy_optILi16ELi16EEvPfPKcPKfii
                                        ; -- End function
	.set _Z11entropy_optILi16ELi16EEvPfPKcPKfii.num_vgpr, 25
	.set _Z11entropy_optILi16ELi16EEvPfPKcPKfii.num_agpr, 0
	.set _Z11entropy_optILi16ELi16EEvPfPKcPKfii.numbered_sgpr, 19
	.set _Z11entropy_optILi16ELi16EEvPfPKcPKfii.num_named_barrier, 0
	.set _Z11entropy_optILi16ELi16EEvPfPKcPKfii.private_seg_size, 0
	.set _Z11entropy_optILi16ELi16EEvPfPKcPKfii.uses_vcc, 1
	.set _Z11entropy_optILi16ELi16EEvPfPKcPKfii.uses_flat_scratch, 0
	.set _Z11entropy_optILi16ELi16EEvPfPKcPKfii.has_dyn_sized_stack, 0
	.set _Z11entropy_optILi16ELi16EEvPfPKcPKfii.has_recursion, 0
	.set _Z11entropy_optILi16ELi16EEvPfPKcPKfii.has_indirect_call, 0
	.section	.AMDGPU.csdata,"",@progbits
; Kernel info:
; codeLenInByte = 3340
; TotalNumSgprs: 21
; NumVgprs: 25
; ScratchSize: 0
; MemoryBound: 0
; FloatMode: 240
; IeeeMode: 1
; LDSByteSize: 16384 bytes/workgroup (compile time only)
; SGPRBlocks: 0
; VGPRBlocks: 1
; NumSGPRsForWavesPerEU: 21
; NumVGPRsForWavesPerEU: 25
; NamedBarCnt: 0
; Occupancy: 16
; WaveLimiterHint : 0
; COMPUTE_PGM_RSRC2:SCRATCH_EN: 0
; COMPUTE_PGM_RSRC2:USER_SGPR: 2
; COMPUTE_PGM_RSRC2:TRAP_HANDLER: 0
; COMPUTE_PGM_RSRC2:TGID_X_EN: 1
; COMPUTE_PGM_RSRC2:TGID_Y_EN: 1
; COMPUTE_PGM_RSRC2:TGID_Z_EN: 0
; COMPUTE_PGM_RSRC2:TIDIG_COMP_CNT: 1
	.text
	.p2alignl 7, 3214868480
	.fill 96, 4, 3214868480
	.section	.AMDGPU.gpr_maximums,"",@progbits
	.set amdgpu.max_num_vgpr, 0
	.set amdgpu.max_num_agpr, 0
	.set amdgpu.max_num_sgpr, 0
	.text
	.type	__hip_cuid_2f4eff78cf865feb,@object ; @__hip_cuid_2f4eff78cf865feb
	.section	.bss,"aw",@nobits
	.globl	__hip_cuid_2f4eff78cf865feb
__hip_cuid_2f4eff78cf865feb:
	.byte	0                               ; 0x0
	.size	__hip_cuid_2f4eff78cf865feb, 1

	.ident	"AMD clang version 22.0.0git (https://github.com/RadeonOpenCompute/llvm-project roc-7.2.4 26084 f58b06dce1f9c15707c5f808fd002e18c2accf7e)"
	.section	".note.GNU-stack","",@progbits
	.addrsig
	.addrsig_sym __hip_cuid_2f4eff78cf865feb
	.amdgpu_metadata
---
amdhsa.kernels:
  - .args:
      - .actual_access:  write_only
        .address_space:  global
        .offset:         0
        .size:           8
        .value_kind:     global_buffer
      - .actual_access:  read_only
        .address_space:  global
        .offset:         8
        .size:           8
        .value_kind:     global_buffer
      - .offset:         16
        .size:           4
        .value_kind:     by_value
      - .offset:         20
        .size:           4
        .value_kind:     by_value
      - .offset:         24
        .size:           4
        .value_kind:     hidden_block_count_x
      - .offset:         28
        .size:           4
        .value_kind:     hidden_block_count_y
      - .offset:         32
        .size:           4
        .value_kind:     hidden_block_count_z
      - .offset:         36
        .size:           2
        .value_kind:     hidden_group_size_x
      - .offset:         38
        .size:           2
        .value_kind:     hidden_group_size_y
      - .offset:         40
        .size:           2
        .value_kind:     hidden_group_size_z
      - .offset:         42
        .size:           2
        .value_kind:     hidden_remainder_x
      - .offset:         44
        .size:           2
        .value_kind:     hidden_remainder_y
      - .offset:         46
        .size:           2
        .value_kind:     hidden_remainder_z
      - .offset:         64
        .size:           8
        .value_kind:     hidden_global_offset_x
      - .offset:         72
        .size:           8
        .value_kind:     hidden_global_offset_y
      - .offset:         80
        .size:           8
        .value_kind:     hidden_global_offset_z
      - .offset:         88
        .size:           2
        .value_kind:     hidden_grid_dims
    .group_segment_fixed_size: 0
    .kernarg_segment_align: 8
    .kernarg_segment_size: 280
    .language:       OpenCL C
    .language_version:
      - 2
      - 0
    .max_flat_workgroup_size: 1024
    .name:           _Z7entropyPfPKcii
    .private_segment_fixed_size: 0
    .sgpr_count:     36
    .sgpr_spill_count: 0
    .symbol:         _Z7entropyPfPKcii.kd
    .uniform_work_group_size: 1
    .uses_dynamic_stack: false
    .vgpr_count:     33
    .vgpr_spill_count: 0
    .wavefront_size: 32
  - .args:
      - .actual_access:  write_only
        .address_space:  global
        .offset:         0
        .size:           8
        .value_kind:     global_buffer
      - .actual_access:  read_only
        .address_space:  global
        .offset:         8
        .size:           8
        .value_kind:     global_buffer
      - .actual_access:  read_only
        .address_space:  global
        .offset:         16
        .size:           8
        .value_kind:     global_buffer
      - .offset:         24
        .size:           4
        .value_kind:     by_value
      - .offset:         28
        .size:           4
        .value_kind:     by_value
      - .offset:         32
        .size:           4
        .value_kind:     hidden_block_count_x
      - .offset:         36
        .size:           4
        .value_kind:     hidden_block_count_y
      - .offset:         40
        .size:           4
        .value_kind:     hidden_block_count_z
      - .offset:         44
        .size:           2
        .value_kind:     hidden_group_size_x
      - .offset:         46
        .size:           2
        .value_kind:     hidden_group_size_y
      - .offset:         48
        .size:           2
        .value_kind:     hidden_group_size_z
      - .offset:         50
        .size:           2
        .value_kind:     hidden_remainder_x
      - .offset:         52
        .size:           2
        .value_kind:     hidden_remainder_y
      - .offset:         54
        .size:           2
        .value_kind:     hidden_remainder_z
      - .offset:         72
        .size:           8
        .value_kind:     hidden_global_offset_x
      - .offset:         80
        .size:           8
        .value_kind:     hidden_global_offset_y
      - .offset:         88
        .size:           8
        .value_kind:     hidden_global_offset_z
      - .offset:         96
        .size:           2
        .value_kind:     hidden_grid_dims
    .group_segment_fixed_size: 16384
    .kernarg_segment_align: 8
    .kernarg_segment_size: 288
    .language:       OpenCL C
    .language_version:
      - 2
      - 0
    .max_flat_workgroup_size: 1024
    .name:           _Z11entropy_optILi16ELi16EEvPfPKcPKfii
    .private_segment_fixed_size: 0
    .sgpr_count:     21
    .sgpr_spill_count: 0
    .symbol:         _Z11entropy_optILi16ELi16EEvPfPKcPKfii.kd
    .uniform_work_group_size: 1
    .uses_dynamic_stack: false
    .vgpr_count:     25
    .vgpr_spill_count: 0
    .wavefront_size: 32
amdhsa.target:   amdgcn-amd-amdhsa--gfx1250
amdhsa.version:
  - 1
  - 2
...

	.end_amdgpu_metadata
